;; amdgpu-corpus repo=ROCm/rocFFT kind=compiled arch=gfx906 opt=O3
	.text
	.amdgcn_target "amdgcn-amd-amdhsa--gfx906"
	.amdhsa_code_object_version 6
	.protected	bluestein_single_back_len1694_dim1_sp_op_CI_CI ; -- Begin function bluestein_single_back_len1694_dim1_sp_op_CI_CI
	.globl	bluestein_single_back_len1694_dim1_sp_op_CI_CI
	.p2align	8
	.type	bluestein_single_back_len1694_dim1_sp_op_CI_CI,@function
bluestein_single_back_len1694_dim1_sp_op_CI_CI: ; @bluestein_single_back_len1694_dim1_sp_op_CI_CI
; %bb.0:
	s_load_dwordx4 s[0:3], s[4:5], 0x28
	v_mul_u32_u24_e32 v1, 0x1aa, v0
	v_add_u32_sdwa v78, s6, v1 dst_sel:DWORD dst_unused:UNUSED_PAD src0_sel:DWORD src1_sel:WORD_1
	v_mov_b32_e32 v79, 0
	s_waitcnt lgkmcnt(0)
	v_cmp_gt_u64_e32 vcc, s[0:1], v[78:79]
	s_and_saveexec_b64 s[0:1], vcc
	s_cbranch_execz .LBB0_18
; %bb.1:
	s_load_dwordx4 s[16:19], s[4:5], 0x18
	s_load_dwordx4 s[12:15], s[4:5], 0x0
	s_movk_i32 s0, 0x9a
	v_mul_lo_u16_sdwa v1, v1, s0 dst_sel:DWORD dst_unused:UNUSED_PAD src0_sel:WORD_1 src1_sel:DWORD
	v_sub_u16_e32 v108, v0, v1
	s_waitcnt lgkmcnt(0)
	s_load_dwordx4 s[8:11], s[16:17], 0x0
	v_lshlrev_b32_e32 v107, 3, v108
	s_movk_i32 s6, 0x1000
	s_waitcnt lgkmcnt(0)
	v_mad_u64_u32 v[0:1], s[0:1], s10, v78, 0
	v_mad_u64_u32 v[2:3], s[0:1], s8, v108, 0
	;; [unrolled: 1-line block ×4, first 2 shown]
	v_mov_b32_e32 v1, v4
	v_lshlrev_b64 v[0:1], 3, v[0:1]
	v_mov_b32_e32 v6, s3
	v_mov_b32_e32 v3, v5
	v_add_co_u32_e32 v4, vcc, s2, v0
	v_addc_co_u32_e32 v5, vcc, v6, v1, vcc
	v_lshlrev_b64 v[0:1], 3, v[2:3]
	v_mov_b32_e32 v2, s13
	v_add_co_u32_e32 v0, vcc, v4, v0
	v_add_co_u32_e64 v109, s[2:3], s12, v107
	s_mul_i32 s0, s9, 0x4d0
	s_mul_hi_u32 s1, s8, 0x4d0
	v_addc_co_u32_e32 v1, vcc, v5, v1, vcc
	v_addc_co_u32_e64 v24, vcc, 0, v2, s[2:3]
	s_add_i32 s0, s1, s0
	s_mul_i32 s1, s8, 0x4d0
	v_mov_b32_e32 v3, s0
	v_add_co_u32_e32 v2, vcc, s1, v0
	v_addc_co_u32_e32 v3, vcc, v1, v3, vcc
	v_mov_b32_e32 v5, s0
	v_add_co_u32_e32 v4, vcc, s1, v2
	v_addc_co_u32_e32 v5, vcc, v3, v5, vcc
	;; [unrolled: 3-line block ×3, first 2 shown]
	global_load_dwordx2 v[8:9], v[0:1], off
	global_load_dwordx2 v[10:11], v[2:3], off
	;; [unrolled: 1-line block ×4, first 2 shown]
	global_load_dwordx2 v[89:90], v107, s[12:13]
	global_load_dwordx2 v[87:88], v107, s[12:13] offset:1232
	global_load_dwordx2 v[83:84], v107, s[12:13] offset:2464
	;; [unrolled: 1-line block ×3, first 2 shown]
	v_mov_b32_e32 v1, s0
	v_add_co_u32_e32 v0, vcc, s1, v6
	v_addc_co_u32_e32 v1, vcc, v7, v1, vcc
	v_add_co_u32_e32 v4, vcc, s6, v109
	v_addc_co_u32_e32 v5, vcc, 0, v24, vcc
	global_load_dwordx2 v[2:3], v[0:1], off
	v_mov_b32_e32 v6, s0
	v_add_co_u32_e32 v0, vcc, s1, v0
	v_addc_co_u32_e32 v1, vcc, v1, v6, vcc
	global_load_dwordx2 v[6:7], v[0:1], off
	v_mov_b32_e32 v16, s0
	v_add_co_u32_e32 v0, vcc, s1, v0
	v_addc_co_u32_e32 v1, vcc, v1, v16, vcc
	global_load_dwordx2 v[16:17], v[0:1], off
	global_load_dwordx2 v[85:86], v[4:5], off offset:832
	global_load_dwordx2 v[81:82], v[4:5], off offset:2064
	;; [unrolled: 1-line block ×3, first 2 shown]
	v_mov_b32_e32 v4, s0
	v_add_co_u32_e32 v0, vcc, s1, v0
	v_addc_co_u32_e32 v1, vcc, v1, v4, vcc
	s_movk_i32 s6, 0x2000
	v_add_co_u32_e32 v18, vcc, s6, v109
	v_addc_co_u32_e32 v19, vcc, 0, v24, vcc
	global_load_dwordx2 v[4:5], v[0:1], off
	v_mov_b32_e32 v20, s0
	v_add_co_u32_e32 v0, vcc, s1, v0
	v_addc_co_u32_e32 v1, vcc, v1, v20, vcc
	global_load_dwordx2 v[20:21], v[0:1], off
	v_mov_b32_e32 v22, s0
	v_add_co_u32_e32 v0, vcc, s1, v0
	global_load_dwordx2 v[72:73], v[18:19], off offset:432
	v_addc_co_u32_e32 v1, vcc, v1, v22, vcc
	global_load_dwordx2 v[22:23], v[0:1], off
	global_load_dwordx2 v[74:75], v[18:19], off offset:1664
	global_load_dwordx2 v[70:71], v[18:19], off offset:2896
	v_mov_b32_e32 v18, s0
	v_add_co_u32_e32 v0, vcc, s1, v0
	v_addc_co_u32_e32 v1, vcc, v1, v18, vcc
	s_movk_i32 s0, 0x3000
	v_add_co_u32_e32 v18, vcc, s0, v109
	v_addc_co_u32_e32 v19, vcc, 0, v24, vcc
	global_load_dwordx2 v[0:1], v[0:1], off
	v_add_u32_e32 v24, 0x800, v107
	global_load_dwordx2 v[68:69], v[18:19], off offset:32
	s_load_dwordx2 s[6:7], s[4:5], 0x38
	s_load_dwordx4 s[8:11], s[18:19], 0x0
	s_mov_b32 s4, 0x3f575c64
	s_mov_b32 s0, 0x3ed4b147
	;; [unrolled: 1-line block ×5, first 2 shown]
	s_waitcnt vmcnt(17)
	v_mul_f32_e32 v18, v9, v90
	v_fmac_f32_e32 v18, v8, v89
	v_mul_f32_e32 v8, v8, v90
	v_fma_f32 v19, v9, v89, -v8
	s_waitcnt vmcnt(16)
	v_mul_f32_e32 v8, v11, v88
	v_mul_f32_e32 v9, v10, v88
	v_fmac_f32_e32 v8, v10, v87
	v_fma_f32 v9, v11, v87, -v9
	ds_write2_b64 v107, v[18:19], v[8:9] offset1:154
	s_waitcnt vmcnt(15)
	v_mul_f32_e32 v8, v13, v84
	v_mul_f32_e32 v9, v12, v84
	s_waitcnt vmcnt(14)
	v_mul_f32_e32 v10, v15, v80
	v_mul_f32_e32 v11, v14, v80
	v_fmac_f32_e32 v8, v12, v83
	v_fma_f32 v9, v13, v83, -v9
	v_fmac_f32_e32 v10, v14, v79
	v_fma_f32 v11, v15, v79, -v11
	ds_write2_b64 v24, v[8:9], v[10:11] offset0:52 offset1:206
	v_add_u32_e32 v10, 0x1200, v107
	v_add_u32_e32 v12, 0x1c00, v107
	s_waitcnt vmcnt(10)
	v_mul_f32_e32 v8, v3, v86
	v_fmac_f32_e32 v8, v2, v85
	v_mul_f32_e32 v2, v2, v86
	v_fma_f32 v9, v3, v85, -v2
	s_waitcnt vmcnt(9)
	v_mul_f32_e32 v2, v7, v82
	v_mul_f32_e32 v3, v6, v82
	v_fmac_f32_e32 v2, v6, v81
	v_fma_f32 v3, v7, v81, -v3
	ds_write2_b64 v10, v[8:9], v[2:3] offset0:40 offset1:194
	s_waitcnt vmcnt(8)
	v_mul_f32_e32 v2, v17, v77
	v_mul_f32_e32 v3, v16, v77
	v_fmac_f32_e32 v2, v16, v76
	v_fma_f32 v3, v17, v76, -v3
	v_add_u32_e32 v16, 0x2400, v107
	s_waitcnt vmcnt(5)
	v_mul_f32_e32 v6, v5, v73
	v_fmac_f32_e32 v6, v4, v72
	v_mul_f32_e32 v4, v4, v73
	v_fma_f32 v7, v5, v72, -v4
	ds_write2_b64 v12, v[2:3], v[6:7] offset0:28 offset1:182
	s_waitcnt vmcnt(3)
	v_mul_f32_e32 v2, v21, v75
	v_mul_f32_e32 v3, v20, v75
	s_waitcnt vmcnt(2)
	v_mul_f32_e32 v4, v23, v71
	v_mul_f32_e32 v5, v22, v71
	v_fmac_f32_e32 v2, v20, v74
	v_fma_f32 v3, v21, v74, -v3
	v_fmac_f32_e32 v4, v22, v70
	v_fma_f32 v5, v23, v70, -v5
	ds_write2_b64 v16, v[2:3], v[4:5] offset0:80 offset1:234
	s_waitcnt vmcnt(0)
	v_mul_f32_e32 v2, v1, v69
	v_fmac_f32_e32 v2, v0, v68
	v_mul_f32_e32 v0, v0, v69
	v_fma_f32 v3, v1, v68, -v0
	ds_write_b64 v107, v[2:3] offset:12320
	s_waitcnt lgkmcnt(0)
	s_barrier
	ds_read2_b64 v[0:3], v107 offset1:154
	ds_read2_b64 v[4:7], v24 offset0:52 offset1:206
	ds_read2_b64 v[8:11], v10 offset0:40 offset1:194
	;; [unrolled: 1-line block ×4, first 2 shown]
	ds_read_b64 v[20:21], v107 offset:12320
	s_waitcnt lgkmcnt(5)
	v_add_f32_e32 v22, v0, v2
	v_add_f32_e32 v23, v1, v3
	s_waitcnt lgkmcnt(4)
	v_add_f32_e32 v22, v22, v4
	v_add_f32_e32 v23, v23, v5
	v_add_f32_e32 v22, v22, v6
	v_add_f32_e32 v23, v23, v7
	s_waitcnt lgkmcnt(3)
	v_add_f32_e32 v22, v22, v8
	v_add_f32_e32 v23, v23, v9
	;; [unrolled: 5-line block ×4, first 2 shown]
	v_add_f32_e32 v22, v22, v18
	s_waitcnt lgkmcnt(0)
	v_add_f32_e32 v25, v20, v2
	v_add_f32_e32 v26, v21, v3
	v_sub_f32_e32 v2, v2, v20
	v_sub_f32_e32 v3, v3, v21
	v_add_f32_e32 v23, v23, v19
	v_add_f32_e32 v22, v22, v20
	v_mul_f32_e32 v20, 0xbf0a6770, v3
	v_mul_f32_e32 v27, 0xbf0a6770, v2
	;; [unrolled: 1-line block ×10, first 2 shown]
	v_add_f32_e32 v23, v23, v21
	v_fma_f32 v21, v25, s4, -v20
	v_mov_b32_e32 v28, v27
	v_fmac_f32_e32 v20, 0x3f575c64, v25
	v_fma_f32 v30, v25, s0, -v29
	v_mov_b32_e32 v32, v31
	v_fmac_f32_e32 v29, 0x3ed4b147, v25
	;; [unrolled: 3-line block ×5, first 2 shown]
	v_add_f32_e32 v21, v0, v21
	v_fmac_f32_e32 v28, 0x3f575c64, v26
	v_add_f32_e32 v20, v0, v20
	v_fma_f32 v27, v26, s4, -v27
	v_add_f32_e32 v30, v0, v30
	v_fmac_f32_e32 v32, 0x3ed4b147, v26
	v_add_f32_e32 v29, v0, v29
	v_fma_f32 v31, v26, s0, -v31
	;; [unrolled: 4-line block ×5, first 2 shown]
	v_add_f32_e32 v3, v19, v5
	v_sub_f32_e32 v5, v5, v19
	v_add_f32_e32 v28, v1, v28
	v_add_f32_e32 v27, v1, v27
	;; [unrolled: 1-line block ×11, first 2 shown]
	v_sub_f32_e32 v4, v4, v18
	v_mul_f32_e32 v18, 0xbf68dda4, v5
	v_fma_f32 v19, v2, s0, -v18
	v_add_f32_e32 v19, v19, v21
	v_mul_f32_e32 v21, 0xbf68dda4, v4
	v_fmac_f32_e32 v18, 0x3ed4b147, v2
	v_mov_b32_e32 v25, v21
	v_add_f32_e32 v18, v18, v20
	v_fma_f32 v20, v3, s0, -v21
	v_mul_f32_e32 v21, 0xbf4178ce, v5
	v_fma_f32 v26, v2, s5, -v21
	v_fmac_f32_e32 v21, 0xbf27a4f4, v2
	v_fmac_f32_e32 v25, 0x3ed4b147, v3
	v_add_f32_e32 v20, v20, v27
	v_mul_f32_e32 v27, 0xbf4178ce, v4
	v_add_f32_e32 v21, v21, v29
	v_mul_f32_e32 v29, 0x3e903f40, v5
	v_add_f32_e32 v25, v25, v28
	v_add_f32_e32 v26, v26, v30
	v_mov_b32_e32 v28, v27
	v_fma_f32 v27, v3, s5, -v27
	v_fma_f32 v30, v2, s12, -v29
	v_fmac_f32_e32 v29, 0xbf75a155, v2
	v_fmac_f32_e32 v28, 0xbf27a4f4, v3
	v_add_f32_e32 v27, v27, v31
	v_mul_f32_e32 v31, 0x3e903f40, v4
	v_add_f32_e32 v29, v29, v33
	v_mul_f32_e32 v33, 0x3f7d64f0, v5
	v_add_f32_e32 v28, v28, v32
	v_add_f32_e32 v30, v30, v34
	v_mov_b32_e32 v32, v31
	v_fma_f32 v31, v3, s12, -v31
	v_fma_f32 v34, v2, s1, -v33
	v_fmac_f32_e32 v33, 0xbe11bafb, v2
	v_mul_f32_e32 v5, 0x3f0a6770, v5
	v_add_f32_e32 v31, v31, v35
	v_mul_f32_e32 v35, 0x3f7d64f0, v4
	v_add_f32_e32 v33, v33, v37
	v_fma_f32 v37, v2, s4, -v5
	v_mul_f32_e32 v4, 0x3f0a6770, v4
	v_fmac_f32_e32 v5, 0x3f575c64, v2
	v_fmac_f32_e32 v32, 0xbf75a155, v3
	v_add_f32_e32 v0, v5, v0
	v_fma_f32 v2, v3, s4, -v4
	v_sub_f32_e32 v5, v7, v17
	v_add_f32_e32 v32, v32, v36
	v_add_f32_e32 v34, v34, v38
	v_mov_b32_e32 v36, v35
	v_mov_b32_e32 v38, v4
	v_add_f32_e32 v1, v2, v1
	v_add_f32_e32 v2, v16, v6
	v_sub_f32_e32 v4, v6, v16
	v_mul_f32_e32 v6, 0xbf7d64f0, v5
	v_fmac_f32_e32 v36, 0xbe11bafb, v3
	v_fma_f32 v35, v3, s1, -v35
	v_fmac_f32_e32 v38, 0x3f575c64, v3
	v_add_f32_e32 v3, v17, v7
	v_fma_f32 v7, v2, s1, -v6
	v_fmac_f32_e32 v6, 0xbe11bafb, v2
	v_mul_f32_e32 v16, 0xbf7d64f0, v4
	v_add_f32_e32 v6, v6, v18
	v_mul_f32_e32 v18, 0x3e903f40, v5
	v_add_f32_e32 v7, v7, v19
	v_mov_b32_e32 v17, v16
	v_fma_f32 v16, v3, s1, -v16
	v_fma_f32 v19, v2, s12, -v18
	v_fmac_f32_e32 v18, 0xbf75a155, v2
	v_fmac_f32_e32 v17, 0xbe11bafb, v3
	v_add_f32_e32 v16, v16, v20
	v_mul_f32_e32 v20, 0x3e903f40, v4
	v_add_f32_e32 v18, v18, v21
	v_mul_f32_e32 v21, 0x3f68dda4, v5
	v_add_f32_e32 v17, v17, v25
	v_add_f32_e32 v19, v19, v26
	v_mov_b32_e32 v25, v20
	v_fma_f32 v20, v3, s12, -v20
	v_fma_f32 v26, v2, s0, -v21
	v_fmac_f32_e32 v21, 0x3ed4b147, v2
	v_fmac_f32_e32 v25, 0xbf75a155, v3
	v_add_f32_e32 v20, v20, v27
	v_mul_f32_e32 v27, 0x3f68dda4, v4
	v_add_f32_e32 v21, v21, v29
	v_mul_f32_e32 v29, 0xbf0a6770, v5
	v_add_f32_e32 v25, v25, v28
	v_add_f32_e32 v26, v26, v30
	v_mov_b32_e32 v28, v27
	v_fma_f32 v27, v3, s0, -v27
	v_fma_f32 v30, v2, s4, -v29
	v_fmac_f32_e32 v29, 0x3f575c64, v2
	v_mul_f32_e32 v5, 0xbf4178ce, v5
	v_add_f32_e32 v27, v27, v31
	v_mul_f32_e32 v31, 0xbf0a6770, v4
	v_add_f32_e32 v29, v29, v33
	v_fma_f32 v33, v2, s5, -v5
	v_mul_f32_e32 v4, 0xbf4178ce, v4
	v_fmac_f32_e32 v5, 0xbf27a4f4, v2
	v_fmac_f32_e32 v28, 0x3ed4b147, v3
	v_add_f32_e32 v0, v5, v0
	v_fma_f32 v2, v3, s5, -v4
	v_sub_f32_e32 v5, v9, v15
	v_add_f32_e32 v28, v28, v32
	v_add_f32_e32 v30, v30, v34
	v_mov_b32_e32 v32, v31
	v_mov_b32_e32 v34, v4
	v_add_f32_e32 v1, v2, v1
	v_add_f32_e32 v2, v14, v8
	v_sub_f32_e32 v4, v8, v14
	v_mul_f32_e32 v8, 0xbf4178ce, v5
	v_fmac_f32_e32 v32, 0x3f575c64, v3
	v_fma_f32 v31, v3, s4, -v31
	v_fmac_f32_e32 v34, 0xbf27a4f4, v3
	v_add_f32_e32 v3, v15, v9
	v_fma_f32 v9, v2, s5, -v8
	v_add_f32_e32 v7, v9, v7
	v_mul_f32_e32 v9, 0xbf4178ce, v4
	v_fmac_f32_e32 v8, 0xbf27a4f4, v2
	v_mov_b32_e32 v14, v9
	v_add_f32_e32 v6, v8, v6
	v_fma_f32 v8, v3, s5, -v9
	v_fmac_f32_e32 v14, 0xbf27a4f4, v3
	v_add_f32_e32 v8, v8, v16
	v_mul_f32_e32 v9, 0x3f7d64f0, v5
	v_mul_f32_e32 v16, 0x3f7d64f0, v4
	v_add_f32_e32 v14, v14, v17
	v_fma_f32 v15, v2, s1, -v9
	v_mov_b32_e32 v17, v16
	v_fmac_f32_e32 v9, 0xbe11bafb, v2
	v_fma_f32 v16, v3, s1, -v16
	v_fmac_f32_e32 v17, 0xbe11bafb, v3
	v_add_f32_e32 v9, v9, v18
	v_add_f32_e32 v16, v16, v20
	v_mul_f32_e32 v18, 0xbf0a6770, v5
	v_mul_f32_e32 v20, 0xbf0a6770, v4
	v_add_f32_e32 v15, v15, v19
	v_add_f32_e32 v17, v17, v25
	v_fma_f32 v19, v2, s4, -v18
	v_mov_b32_e32 v25, v20
	v_fma_f32 v20, v3, s4, -v20
	v_add_f32_e32 v19, v19, v26
	v_fmac_f32_e32 v18, 0x3f575c64, v2
	v_add_f32_e32 v26, v20, v27
	v_mul_f32_e32 v20, 0xbe903f40, v5
	v_add_f32_e32 v18, v18, v21
	v_fma_f32 v21, v2, s12, -v20
	v_add_f32_e32 v35, v35, v39
	v_add_f32_e32 v27, v21, v30
	v_mul_f32_e32 v21, 0xbe903f40, v4
	v_fmac_f32_e32 v20, 0xbf75a155, v2
	v_add_f32_e32 v37, v37, v41
	v_add_f32_e32 v31, v31, v35
	;; [unrolled: 1-line block ×3, first 2 shown]
	v_fma_f32 v20, v3, s12, -v21
	v_mul_f32_e32 v5, 0x3f68dda4, v5
	v_add_f32_e32 v38, v38, v42
	v_add_f32_e32 v33, v33, v37
	v_fmac_f32_e32 v25, 0x3f575c64, v3
	v_add_f32_e32 v30, v20, v31
	v_fma_f32 v20, v2, s0, -v5
	v_mul_f32_e32 v4, 0x3f68dda4, v4
	v_add_f32_e32 v36, v36, v40
	v_add_f32_e32 v34, v34, v38
	;; [unrolled: 1-line block ×3, first 2 shown]
	v_mov_b32_e32 v28, v21
	v_add_f32_e32 v31, v20, v33
	v_mov_b32_e32 v20, v4
	v_fmac_f32_e32 v5, 0x3ed4b147, v2
	v_sub_f32_e32 v38, v11, v13
	v_add_f32_e32 v32, v32, v36
	v_fmac_f32_e32 v28, 0xbf75a155, v3
	v_fmac_f32_e32 v20, 0x3ed4b147, v3
	v_add_f32_e32 v33, v5, v0
	v_fma_f32 v0, v3, s0, -v4
	v_add_f32_e32 v35, v12, v10
	v_sub_f32_e32 v37, v10, v12
	v_mul_f32_e32 v2, 0xbe903f40, v38
	v_add_f32_e32 v28, v28, v32
	v_add_f32_e32 v32, v20, v34
	;; [unrolled: 1-line block ×4, first 2 shown]
	v_fma_f32 v0, v35, s12, -v2
	v_mul_f32_e32 v3, 0xbe903f40, v37
	v_fmac_f32_e32 v2, 0xbf75a155, v35
	v_mul_f32_e32 v5, 0x3f0a6770, v37
	v_mov_b32_e32 v1, v3
	v_add_f32_e32 v20, v2, v6
	v_fma_f32 v2, v36, s12, -v3
	v_mul_f32_e32 v4, 0x3f0a6770, v38
	v_mov_b32_e32 v3, v5
	v_add_f32_e32 v21, v2, v8
	v_fma_f32 v2, v35, s4, -v4
	v_fmac_f32_e32 v3, 0x3f575c64, v36
	v_fmac_f32_e32 v4, 0x3f575c64, v35
	v_mul_f32_e32 v8, 0xbf4178ce, v38
	v_add_f32_e32 v3, v3, v17
	v_add_f32_e32 v4, v4, v9
	v_fma_f32 v5, v36, s4, -v5
	v_fma_f32 v6, v35, s5, -v8
	v_mul_f32_e32 v9, 0xbf4178ce, v37
	v_fmac_f32_e32 v8, 0xbf27a4f4, v35
	v_mul_f32_e32 v12, 0x3f68dda4, v38
	v_mul_f32_e32 v13, 0x3f68dda4, v37
	;; [unrolled: 1-line block ×3, first 2 shown]
	v_add_f32_e32 v0, v0, v7
	v_fmac_f32_e32 v1, 0xbf75a155, v36
	v_add_f32_e32 v2, v2, v15
	v_add_f32_e32 v5, v5, v16
	v_mov_b32_e32 v7, v9
	v_add_f32_e32 v8, v8, v18
	v_fma_f32 v10, v35, s0, -v12
	v_mov_b32_e32 v11, v13
	v_fmac_f32_e32 v12, 0x3ed4b147, v35
	v_mul_f32_e32 v16, 0xbf7d64f0, v38
	v_mov_b32_e32 v15, v17
	v_mul_lo_u16_e32 v18, 11, v108
	v_add_f32_e32 v1, v1, v14
	v_fmac_f32_e32 v7, 0xbf27a4f4, v36
	v_fma_f32 v9, v36, s5, -v9
	v_fmac_f32_e32 v11, 0x3ed4b147, v36
	v_add_f32_e32 v12, v12, v29
	v_fma_f32 v13, v36, s0, -v13
	v_fma_f32 v14, v35, s1, -v16
	v_fmac_f32_e32 v15, 0xbe11bafb, v36
	v_fmac_f32_e32 v16, 0xbe11bafb, v35
	v_fma_f32 v17, v36, s1, -v17
	v_lshlrev_b32_e32 v110, 3, v18
	v_add_f32_e32 v6, v6, v19
	v_add_f32_e32 v7, v7, v25
	;; [unrolled: 1-line block ×10, first 2 shown]
	s_barrier
	ds_write2_b64 v110, v[22:23], v[0:1] offset1:1
	ds_write2_b64 v110, v[2:3], v[6:7] offset0:2 offset1:3
	ds_write2_b64 v110, v[10:11], v[14:15] offset0:4 offset1:5
	;; [unrolled: 1-line block ×4, first 2 shown]
	ds_write_b64 v110, v[20:21] offset:80
	v_add_u32_e32 v0, 0x1300, v107
	v_add_u32_e32 v4, 0x1e00, v107
	;; [unrolled: 1-line block ×3, first 2 shown]
	s_waitcnt lgkmcnt(0)
	s_barrier
	ds_read2_b64 v[8:11], v107 offset1:154
	ds_read2_b64 v[0:3], v0 offset0:8 offset1:239
	ds_read2_b64 v[16:19], v4 offset0:41 offset1:195
	;; [unrolled: 1-line block ×4, first 2 shown]
	s_movk_i32 s0, 0x4d
	v_cmp_gt_u16_e64 s[0:1], s0, v108
                                        ; implicit-def: $vgpr22
	s_and_saveexec_b64 s[4:5], s[0:1]
	s_cbranch_execz .LBB0_3
; %bb.2:
	ds_read_b64 v[20:21], v107 offset:6160
	ds_read_b64 v[22:23], v107 offset:12936
.LBB0_3:
	s_or_b64 exec, exec, s[4:5]
	s_movk_i32 s4, 0x134
	v_add_co_u32_e32 v24, vcc, s4, v108
	s_movk_i32 s4, 0x1ce
	v_add_co_u32_e32 v25, vcc, s4, v108
	;; [unrolled: 2-line block ×3, first 2 shown]
	s_movk_i32 s4, 0x75
	v_mul_lo_u16_sdwa v27, v108, s4 dst_sel:DWORD dst_unused:UNUSED_PAD src0_sel:BYTE_0 src1_sel:DWORD
	v_sub_u16_sdwa v28, v108, v27 dst_sel:DWORD dst_unused:UNUSED_PAD src0_sel:DWORD src1_sel:BYTE_1
	v_lshrrev_b16_e32 v28, 1, v28
	v_and_b32_e32 v28, 0x7f, v28
	v_add_u16_sdwa v27, v28, v27 dst_sel:DWORD dst_unused:UNUSED_PAD src0_sel:DWORD src1_sel:BYTE_1
	v_lshrrev_b16_e32 v27, 3, v27
	v_mul_lo_u16_e32 v28, 11, v27
	v_sub_u16_e32 v28, v108, v28
	v_and_b32_e32 v28, 0xff, v28
	v_lshlrev_b32_e32 v29, 3, v28
	global_load_dwordx2 v[91:92], v29, s[14:15]
	v_add_co_u32_e32 v40, vcc, 0x9a, v108
	s_mov_b32 s4, 0xba2f
	s_waitcnt vmcnt(0) lgkmcnt(3)
	v_mul_f32_e32 v29, v3, v92
	v_fma_f32 v29, v2, v91, -v29
	v_mul_f32_e32 v30, v2, v92
	v_mul_u32_u24_sdwa v2, v40, s4 dst_sel:DWORD dst_unused:UNUSED_PAD src0_sel:WORD_0 src1_sel:DWORD
	v_lshrrev_b32_e32 v31, 19, v2
	v_mul_lo_u16_e32 v2, 11, v31
	v_sub_u16_e32 v32, v40, v2
	v_lshlrev_b32_e32 v2, 3, v32
	global_load_dwordx2 v[93:94], v2, s[14:15]
	v_fmac_f32_e32 v30, v3, v91
	s_waitcnt vmcnt(0) lgkmcnt(2)
	v_mul_f32_e32 v2, v17, v94
	v_fma_f32 v33, v16, v93, -v2
	v_mul_u32_u24_sdwa v2, v24, s4 dst_sel:DWORD dst_unused:UNUSED_PAD src0_sel:WORD_0 src1_sel:DWORD
	v_lshrrev_b32_e32 v34, 19, v2
	v_mul_lo_u16_e32 v2, 11, v34
	v_sub_u16_e32 v24, v24, v2
	v_lshlrev_b32_e32 v2, 3, v24
	global_load_dwordx2 v[95:96], v2, s[14:15]
	v_mul_f32_e32 v16, v16, v94
	v_fmac_f32_e32 v16, v17, v93
	s_waitcnt vmcnt(0)
	v_mul_f32_e32 v2, v19, v96
	v_fma_f32 v17, v18, v95, -v2
	v_mul_u32_u24_sdwa v2, v25, s4 dst_sel:DWORD dst_unused:UNUSED_PAD src0_sel:WORD_0 src1_sel:DWORD
	v_lshrrev_b32_e32 v35, 19, v2
	v_mul_lo_u16_e32 v2, 11, v35
	v_sub_u16_e32 v25, v25, v2
	v_lshlrev_b32_e32 v2, 3, v25
	global_load_dwordx2 v[97:98], v2, s[14:15]
	v_mul_f32_e32 v18, v18, v96
	v_fmac_f32_e32 v18, v19, v95
	s_waitcnt vmcnt(0) lgkmcnt(0)
	v_mul_f32_e32 v2, v13, v98
	v_fma_f32 v19, v12, v97, -v2
	v_mul_u32_u24_sdwa v2, v26, s4 dst_sel:DWORD dst_unused:UNUSED_PAD src0_sel:WORD_0 src1_sel:DWORD
	v_lshrrev_b32_e32 v37, 19, v2
	v_mul_lo_u16_e32 v2, 11, v37
	v_sub_u16_e32 v26, v26, v2
	v_lshlrev_b32_e32 v2, 3, v26
	global_load_dwordx2 v[99:100], v2, s[14:15]
	v_mul_f32_e32 v36, v12, v98
	v_fmac_f32_e32 v36, v13, v97
	v_sub_f32_e32 v12, v10, v33
	v_sub_f32_e32 v13, v11, v16
	v_sub_f32_e32 v16, v6, v19
	v_fma_f32 v10, v10, 2.0, -v12
	v_fma_f32 v11, v11, 2.0, -v13
	;; [unrolled: 1-line block ×3, first 2 shown]
	s_waitcnt vmcnt(0)
	v_mul_f32_e32 v2, v15, v100
	v_fma_f32 v38, v14, v99, -v2
	v_add_u16_e32 v2, 0x302, v108
	v_mul_u32_u24_e32 v3, 0xba2f, v2
	v_lshrrev_b32_e32 v111, 19, v3
	v_mul_lo_u16_e32 v3, 11, v111
	v_sub_u16_e32 v112, v2, v3
	v_lshlrev_b32_e32 v2, 3, v112
	global_load_dwordx2 v[101:102], v2, s[14:15]
	v_sub_f32_e32 v3, v9, v30
	v_fma_f32 v9, v9, 2.0, -v3
	s_waitcnt vmcnt(0)
	s_barrier
	v_mul_f32_e32 v39, v14, v100
	v_fmac_f32_e32 v39, v15, v99
	v_sub_f32_e32 v14, v4, v17
	v_sub_f32_e32 v15, v5, v18
	;; [unrolled: 1-line block ×5, first 2 shown]
	v_fma_f32 v4, v4, 2.0, -v14
	v_fma_f32 v5, v5, 2.0, -v15
	;; [unrolled: 1-line block ×5, first 2 shown]
	v_mul_f32_e32 v2, v23, v102
	v_fma_f32 v41, v22, v101, -v2
	v_mul_f32_e32 v22, v22, v102
	v_fmac_f32_e32 v22, v23, v101
	v_sub_f32_e32 v2, v8, v29
	v_sub_f32_e32 v45, v21, v22
	v_mul_u32_u24_e32 v22, 22, v27
	v_fma_f32 v8, v8, 2.0, -v2
	v_add_lshl_u32 v113, v22, v28, 3
	ds_write2_b64 v113, v[8:9], v[2:3] offset1:11
	v_mad_legacy_u16 v2, v31, 22, v32
	v_lshlrev_b32_e32 v114, 3, v2
	v_mad_legacy_u16 v2, v34, 22, v24
	v_lshlrev_b32_e32 v115, 3, v2
	;; [unrolled: 2-line block ×3, first 2 shown]
	v_mad_legacy_u16 v2, v37, 22, v26
	v_sub_f32_e32 v44, v20, v41
	v_lshlrev_b32_e32 v117, 3, v2
	ds_write2_b64 v114, v[10:11], v[12:13] offset1:11
	ds_write2_b64 v115, v[4:5], v[14:15] offset1:11
	;; [unrolled: 1-line block ×4, first 2 shown]
	s_and_saveexec_b64 s[4:5], s[0:1]
	s_cbranch_execz .LBB0_5
; %bb.4:
	v_mad_legacy_u16 v2, v111, 22, v112
	v_fma_f32 v1, v21, 2.0, -v45
	v_fma_f32 v0, v20, 2.0, -v44
	v_lshlrev_b32_e32 v2, 3, v2
	ds_write2_b64 v2, v[0:1], v[44:45] offset1:11
.LBB0_5:
	s_or_b64 exec, exec, s[4:5]
	v_lshrrev_b16_e32 v0, 1, v108
	v_and_b32_e32 v0, 0x7f, v0
	v_mul_lo_u16_e32 v0, 0xbb, v0
	v_lshrrev_b16_e32 v43, 11, v0
	v_mul_lo_u16_e32 v0, 22, v43
	v_sub_u16_e32 v0, v108, v0
	v_and_b32_e32 v46, 0xff, v0
	v_mov_b32_e32 v0, s14
	s_movk_i32 s4, 0x50
	v_mov_b32_e32 v1, s15
	v_mad_u64_u32 v[0:1], s[4:5], v46, s4, v[0:1]
	s_waitcnt lgkmcnt(0)
	s_barrier
	global_load_dwordx4 v[24:27], v[0:1], off offset:88
	global_load_dwordx4 v[20:23], v[0:1], off offset:104
	;; [unrolled: 1-line block ×5, first 2 shown]
	ds_read2_b64 v[0:3], v107 offset1:154
	v_add_u32_e32 v4, 0x800, v107
	v_add_u32_e32 v8, 0x1200, v107
	;; [unrolled: 1-line block ×4, first 2 shown]
	ds_read_b64 v[41:42], v107 offset:12320
	ds_read2_b64 v[4:7], v4 offset0:52 offset1:206
	ds_read2_b64 v[8:11], v8 offset0:40 offset1:194
	;; [unrolled: 1-line block ×4, first 2 shown]
	s_mov_b32 s4, 0x3f575c64
	s_mov_b32 s5, 0x3ed4b147
	;; [unrolled: 1-line block ×5, first 2 shown]
	v_add_u32_e32 v120, 0xf00, v107
	v_add_u32_e32 v119, 0x1e00, v107
	s_waitcnt vmcnt(0) lgkmcnt(0)
	s_barrier
	s_waitcnt lgkmcnt(0)
                                        ; implicit-def: $vgpr105
	v_mul_f32_e32 v47, v3, v25
	v_mul_f32_e32 v48, v2, v25
	;; [unrolled: 1-line block ×9, first 2 shown]
	v_fma_f32 v2, v2, v24, -v47
	v_fmac_f32_e32 v48, v3, v24
	v_mul_f32_e32 v52, v6, v21
	v_mul_f32_e32 v54, v8, v23
	;; [unrolled: 1-line block ×5, first 2 shown]
	v_fma_f32 v4, v4, v26, -v49
	v_fmac_f32_e32 v50, v5, v26
	v_fma_f32 v5, v6, v20, -v51
	v_fma_f32 v6, v8, v22, -v53
	v_fma_f32 v8, v32, v18, -v57
	v_fmac_f32_e32 v58, v33, v18
	v_fma_f32 v3, v41, v30, -v65
	v_add_f32_e32 v32, v0, v2
	v_add_f32_e32 v33, v1, v48
	v_mul_f32_e32 v56, v10, v17
	v_mul_f32_e32 v60, v34, v13
	;; [unrolled: 1-line block ×3, first 2 shown]
	v_fmac_f32_e32 v52, v7, v20
	v_fmac_f32_e32 v54, v9, v22
	v_fma_f32 v7, v10, v16, -v55
	v_fma_f32 v9, v34, v12, -v59
	;; [unrolled: 1-line block ×3, first 2 shown]
	v_add_f32_e32 v34, v2, v3
	v_sub_f32_e32 v36, v2, v3
	v_add_f32_e32 v2, v32, v4
	v_add_f32_e32 v32, v33, v50
	;; [unrolled: 1-line block ×4, first 2 shown]
	v_fmac_f32_e32 v56, v11, v16
	v_add_f32_e32 v2, v2, v6
	v_add_f32_e32 v32, v32, v54
	;; [unrolled: 1-line block ×4, first 2 shown]
	v_fmac_f32_e32 v60, v35, v12
	v_add_f32_e32 v2, v2, v8
	v_add_f32_e32 v32, v32, v58
	v_mul_f32_e32 v63, v39, v29
	v_mul_f32_e32 v64, v38, v29
	;; [unrolled: 1-line block ×3, first 2 shown]
	v_fmac_f32_e32 v62, v37, v14
	v_add_f32_e32 v2, v2, v9
	v_add_f32_e32 v32, v32, v60
	v_fma_f32 v11, v38, v28, -v63
	v_fmac_f32_e32 v64, v39, v28
	v_fmac_f32_e32 v66, v42, v30
	v_add_f32_e32 v2, v2, v10
	v_add_f32_e32 v32, v32, v62
	;; [unrolled: 1-line block ×3, first 2 shown]
	v_sub_f32_e32 v37, v48, v66
	v_mul_f32_e32 v38, 0xbf0a6770, v36
	v_add_f32_e32 v2, v2, v11
	v_add_f32_e32 v32, v32, v64
	v_mul_f32_e32 v47, 0xbf68dda4, v36
	v_mul_f32_e32 v53, 0xbf7d64f0, v36
	;; [unrolled: 1-line block ×5, first 2 shown]
	v_mov_b32_e32 v41, v38
	v_add_f32_e32 v2, v2, v3
	v_add_f32_e32 v3, v32, v66
	v_fma_f32 v32, v35, s4, -v38
	v_mul_f32_e32 v38, 0xbf68dda4, v37
	v_mov_b32_e32 v48, v47
	v_mul_f32_e32 v49, 0xbf7d64f0, v37
	v_mov_b32_e32 v55, v53
	;; [unrolled: 2-line block ×4, first 2 shown]
	v_fma_f32 v39, v34, s4, -v33
	v_fmac_f32_e32 v33, 0x3f575c64, v34
	v_fmac_f32_e32 v41, 0x3f575c64, v35
	v_fma_f32 v42, v34, s5, -v38
	v_fmac_f32_e32 v48, 0x3ed4b147, v35
	v_fmac_f32_e32 v38, 0x3ed4b147, v34
	v_fma_f32 v47, v35, s5, -v47
	v_fma_f32 v51, v34, s12, -v49
	v_fmac_f32_e32 v55, 0xbe11bafb, v35
	v_fmac_f32_e32 v49, 0xbe11bafb, v34
	v_fma_f32 v53, v35, s12, -v53
	;; [unrolled: 4-line block ×4, first 2 shown]
	v_add_f32_e32 v41, v1, v41
	v_add_f32_e32 v32, v1, v32
	v_add_f32_e32 v48, v1, v48
	v_add_f32_e32 v47, v1, v47
	v_add_f32_e32 v55, v1, v55
	v_add_f32_e32 v53, v1, v53
	v_add_f32_e32 v63, v1, v63
	v_add_f32_e32 v61, v1, v61
	v_add_f32_e32 v66, v1, v66
	v_add_f32_e32 v1, v1, v34
	v_add_f32_e32 v34, v4, v11
	v_sub_f32_e32 v4, v4, v11
	v_sub_f32_e32 v11, v50, v64
	v_mul_f32_e32 v36, 0xbf68dda4, v11
	v_add_f32_e32 v39, v0, v39
	v_add_f32_e32 v33, v0, v33
	;; [unrolled: 1-line block ×10, first 2 shown]
	v_fma_f32 v37, v34, s5, -v36
	v_add_f32_e32 v35, v50, v64
	v_add_f32_e32 v37, v37, v39
	v_mul_f32_e32 v39, 0xbf68dda4, v4
	v_fmac_f32_e32 v36, 0x3ed4b147, v34
	v_add_f32_e32 v33, v36, v33
	v_fma_f32 v36, v35, s5, -v39
	v_add_f32_e32 v32, v36, v32
	v_mul_f32_e32 v36, 0xbf4178ce, v11
	v_mov_b32_e32 v50, v39
	v_fma_f32 v39, v34, s16, -v36
	v_fmac_f32_e32 v50, 0x3ed4b147, v35
	v_add_f32_e32 v39, v39, v42
	v_mul_f32_e32 v42, 0xbf4178ce, v4
	v_add_f32_e32 v41, v50, v41
	v_mov_b32_e32 v50, v42
	v_fmac_f32_e32 v36, 0xbf27a4f4, v34
	v_fmac_f32_e32 v50, 0xbf27a4f4, v35
	v_add_f32_e32 v36, v36, v38
	v_fma_f32 v38, v35, s16, -v42
	v_mul_f32_e32 v42, 0x3e903f40, v11
	v_add_f32_e32 v48, v50, v48
	v_add_f32_e32 v38, v38, v47
	v_fma_f32 v47, v34, s17, -v42
	v_mul_f32_e32 v50, 0x3e903f40, v4
	v_add_f32_e32 v47, v47, v51
	v_mov_b32_e32 v51, v50
	v_fmac_f32_e32 v42, 0xbf75a155, v34
	v_fmac_f32_e32 v51, 0xbf75a155, v35
	v_add_f32_e32 v42, v42, v49
	v_fma_f32 v49, v35, s17, -v50
	v_mul_f32_e32 v50, 0x3f7d64f0, v11
	v_add_f32_e32 v51, v51, v55
	v_add_f32_e32 v49, v49, v53
	v_fma_f32 v53, v34, s12, -v50
	v_mul_f32_e32 v55, 0x3f7d64f0, v4
	v_add_f32_e32 v53, v53, v59
	v_mov_b32_e32 v59, v55
	v_fma_f32 v55, v35, s12, -v55
	v_mul_f32_e32 v4, 0x3f0a6770, v4
	v_add_f32_e32 v55, v55, v61
	v_mov_b32_e32 v61, v4
	v_fma_f32 v4, v35, s4, -v4
	v_fmac_f32_e32 v50, 0xbe11bafb, v34
	v_mul_f32_e32 v11, 0x3f0a6770, v11
	v_add_f32_e32 v1, v4, v1
	v_add_f32_e32 v4, v5, v10
	v_sub_f32_e32 v5, v5, v10
	v_sub_f32_e32 v10, v52, v62
	v_add_f32_e32 v50, v50, v57
	v_fma_f32 v57, v34, s4, -v11
	v_fmac_f32_e32 v11, 0x3f575c64, v34
	v_mul_f32_e32 v34, 0xbf7d64f0, v10
	v_fmac_f32_e32 v59, 0xbe11bafb, v35
	v_fmac_f32_e32 v61, 0x3f575c64, v35
	v_fma_f32 v35, v4, s12, -v34
	v_add_f32_e32 v0, v11, v0
	v_add_f32_e32 v11, v52, v62
	;; [unrolled: 1-line block ×3, first 2 shown]
	v_mul_f32_e32 v37, 0xbf7d64f0, v5
	v_fmac_f32_e32 v34, 0xbe11bafb, v4
	v_add_f32_e32 v33, v34, v33
	v_fma_f32 v34, v11, s12, -v37
	v_add_f32_e32 v32, v34, v32
	v_mul_f32_e32 v34, 0x3e903f40, v10
	v_mov_b32_e32 v52, v37
	v_fma_f32 v37, v4, s17, -v34
	v_add_f32_e32 v37, v37, v39
	v_mul_f32_e32 v39, 0x3e903f40, v5
	v_fmac_f32_e32 v34, 0xbf75a155, v4
	v_add_f32_e32 v34, v34, v36
	v_fma_f32 v36, v11, s17, -v39
	v_fmac_f32_e32 v52, 0xbe11bafb, v11
	v_add_f32_e32 v36, v36, v38
	v_mul_f32_e32 v38, 0x3f68dda4, v10
	v_add_f32_e32 v41, v52, v41
	v_mov_b32_e32 v52, v39
	v_fma_f32 v39, v4, s5, -v38
	v_fmac_f32_e32 v52, 0xbf75a155, v11
	v_add_f32_e32 v39, v39, v47
	v_mul_f32_e32 v47, 0x3f68dda4, v5
	v_add_f32_e32 v48, v52, v48
	v_mov_b32_e32 v52, v47
	v_fmac_f32_e32 v38, 0x3ed4b147, v4
	v_fmac_f32_e32 v52, 0x3ed4b147, v11
	v_add_f32_e32 v38, v38, v42
	v_fma_f32 v42, v11, s5, -v47
	v_mul_f32_e32 v47, 0xbf0a6770, v10
	v_add_f32_e32 v51, v52, v51
	v_add_f32_e32 v42, v42, v49
	v_fma_f32 v49, v4, s4, -v47
	v_mul_f32_e32 v52, 0xbf0a6770, v5
	v_fmac_f32_e32 v47, 0x3f575c64, v4
	v_mul_f32_e32 v10, 0xbf4178ce, v10
	v_mul_f32_e32 v5, 0xbf4178ce, v5
	v_add_f32_e32 v49, v49, v53
	v_mov_b32_e32 v53, v52
	v_add_f32_e32 v47, v47, v50
	v_fma_f32 v50, v11, s4, -v52
	v_fma_f32 v52, v4, s16, -v10
	v_fmac_f32_e32 v10, 0xbf27a4f4, v4
	v_fma_f32 v4, v11, s16, -v5
	v_add_f32_e32 v1, v4, v1
	v_add_f32_e32 v4, v6, v9
	v_sub_f32_e32 v6, v6, v9
	v_sub_f32_e32 v9, v54, v60
	v_add_f32_e32 v50, v50, v55
	v_mov_b32_e32 v55, v5
	v_add_f32_e32 v0, v10, v0
	v_mul_f32_e32 v10, 0xbf4178ce, v9
	v_fmac_f32_e32 v53, 0x3f575c64, v11
	v_fmac_f32_e32 v55, 0xbf27a4f4, v11
	v_fma_f32 v11, v4, s16, -v10
	v_add_f32_e32 v5, v54, v60
	v_add_f32_e32 v11, v11, v35
	v_mul_f32_e32 v35, 0xbf4178ce, v6
	v_fmac_f32_e32 v10, 0xbf27a4f4, v4
	v_add_f32_e32 v10, v10, v33
	v_fma_f32 v33, v5, s16, -v35
	v_add_f32_e32 v32, v33, v32
	v_mul_f32_e32 v33, 0x3f7d64f0, v9
	v_mov_b32_e32 v54, v35
	v_fma_f32 v35, v4, s12, -v33
	v_add_f32_e32 v35, v35, v37
	v_mul_f32_e32 v37, 0x3f7d64f0, v6
	v_fmac_f32_e32 v33, 0xbe11bafb, v4
	v_add_f32_e32 v33, v33, v34
	v_fma_f32 v34, v5, s12, -v37
	v_fmac_f32_e32 v54, 0xbf27a4f4, v5
	v_add_f32_e32 v34, v34, v36
	v_mul_f32_e32 v36, 0xbf0a6770, v9
	v_add_f32_e32 v41, v54, v41
	v_mov_b32_e32 v54, v37
	v_fma_f32 v37, v4, s4, -v36
	v_fmac_f32_e32 v54, 0xbe11bafb, v5
	v_add_f32_e32 v37, v37, v39
	v_mul_f32_e32 v39, 0xbf0a6770, v6
	v_fmac_f32_e32 v36, 0x3f575c64, v4
	v_add_f32_e32 v48, v54, v48
	v_mov_b32_e32 v54, v39
	v_add_f32_e32 v36, v36, v38
	v_fma_f32 v38, v5, s4, -v39
	v_mul_f32_e32 v39, 0xbe903f40, v9
	v_add_f32_e32 v38, v38, v42
	v_fma_f32 v42, v4, s17, -v39
	v_add_f32_e32 v57, v57, v65
	v_fmac_f32_e32 v54, 0x3f575c64, v5
	v_add_f32_e32 v42, v42, v49
	v_mul_f32_e32 v49, 0xbe903f40, v6
	v_fmac_f32_e32 v39, 0xbf75a155, v4
	v_mul_f32_e32 v9, 0x3f68dda4, v9
	v_add_f32_e32 v59, v59, v63
	v_add_f32_e32 v61, v61, v66
	;; [unrolled: 1-line block ×4, first 2 shown]
	v_mov_b32_e32 v54, v49
	v_add_f32_e32 v39, v39, v47
	v_fma_f32 v47, v5, s17, -v49
	v_fma_f32 v49, v4, s5, -v9
	v_mul_f32_e32 v6, 0x3f68dda4, v6
	v_fmac_f32_e32 v9, 0x3ed4b147, v4
	v_add_f32_e32 v64, v56, v58
	v_sub_f32_e32 v56, v56, v58
	v_add_f32_e32 v53, v53, v59
	v_add_f32_e32 v55, v55, v61
	;; [unrolled: 1-line block ×3, first 2 shown]
	v_mov_b32_e32 v49, v6
	v_add_f32_e32 v61, v9, v0
	v_fma_f32 v0, v5, s5, -v6
	v_add_f32_e32 v63, v7, v8
	v_sub_f32_e32 v65, v7, v8
	v_mul_f32_e32 v4, 0xbe903f40, v56
	v_fmac_f32_e32 v54, 0xbf75a155, v5
	v_fmac_f32_e32 v49, 0x3ed4b147, v5
	v_add_f32_e32 v62, v0, v1
	v_fma_f32 v0, v63, s17, -v4
	v_mul_f32_e32 v5, 0xbe903f40, v65
	v_fmac_f32_e32 v4, 0xbf75a155, v63
	v_add_f32_e32 v57, v54, v53
	v_add_f32_e32 v54, v4, v10
	v_fma_f32 v4, v64, s17, -v5
	v_mul_f32_e32 v6, 0x3f0a6770, v56
	v_add_f32_e32 v60, v49, v55
	v_add_f32_e32 v55, v4, v32
	v_fma_f32 v4, v63, s4, -v6
	v_mul_f32_e32 v7, 0x3f0a6770, v65
	v_fmac_f32_e32 v6, 0x3f575c64, v63
	v_add_f32_e32 v52, v6, v33
	v_fma_f32 v6, v64, s4, -v7
	v_mul_f32_e32 v8, 0xbf4178ce, v56
	v_mul_f32_e32 v9, 0xbf4178ce, v65
	v_mov_b32_e32 v1, v5
	v_mov_b32_e32 v5, v7
	v_add_f32_e32 v53, v6, v34
	v_fma_f32 v6, v63, s16, -v8
	v_mov_b32_e32 v7, v9
	v_fmac_f32_e32 v8, 0xbf27a4f4, v63
	v_add_f32_e32 v47, v47, v50
	v_fmac_f32_e32 v7, 0xbf27a4f4, v64
	v_add_f32_e32 v50, v8, v36
	v_fma_f32 v8, v64, s16, -v9
	v_mul_f32_e32 v10, 0x3f68dda4, v56
	v_add_f32_e32 v0, v0, v11
	v_fmac_f32_e32 v5, 0x3f575c64, v64
	v_add_f32_e32 v7, v7, v51
	v_add_f32_e32 v51, v8, v38
	v_fma_f32 v8, v63, s5, -v10
	v_mul_f32_e32 v11, 0x3f68dda4, v65
	v_fmac_f32_e32 v10, 0x3ed4b147, v63
	v_mul_f32_e32 v33, 0xbf7d64f0, v65
	v_fmac_f32_e32 v1, 0xbf75a155, v64
	v_add_f32_e32 v5, v5, v48
	v_mov_b32_e32 v9, v11
	v_add_f32_e32 v48, v10, v39
	v_fma_f32 v10, v64, s5, -v11
	v_mul_f32_e32 v32, 0xbf7d64f0, v56
	v_mov_b32_e32 v11, v33
	v_mul_u32_u24_e32 v34, 0xf2, v43
	v_add_f32_e32 v1, v1, v41
	v_fmac_f32_e32 v9, 0x3ed4b147, v64
	v_add_f32_e32 v49, v10, v47
	v_fma_f32 v10, v63, s12, -v32
	v_fmac_f32_e32 v11, 0xbe11bafb, v64
	v_fmac_f32_e32 v32, 0xbe11bafb, v63
	v_fma_f32 v33, v64, s12, -v33
	v_add_lshl_u32 v118, v34, v46, 3
	v_add_f32_e32 v4, v4, v35
	v_add_f32_e32 v6, v6, v37
	;; [unrolled: 1-line block ×8, first 2 shown]
	ds_write2_b64 v118, v[2:3], v[0:1] offset1:22
	ds_write2_b64 v118, v[4:5], v[6:7] offset0:44 offset1:66
	ds_write2_b64 v118, v[8:9], v[10:11] offset0:88 offset1:110
	;; [unrolled: 1-line block ×4, first 2 shown]
	ds_write_b64 v118, v[54:55] offset:1760
	s_waitcnt lgkmcnt(0)
	s_barrier
	ds_read2_b64 v[56:59], v107 offset1:242
	ds_read2_b64 v[60:63], v120 offset0:4 offset1:246
	ds_read2_b64 v[64:67], v119 offset0:8 offset1:250
	ds_read_b64 v[103:104], v107 offset:11616
	s_movk_i32 s4, 0x58
	v_cmp_gt_u16_e64 s[4:5], s4, v108
	s_and_saveexec_b64 s[16:17], s[4:5]
	s_cbranch_execz .LBB0_7
; %bb.6:
	v_add_u32_e32 v0, 0x480, v107
	ds_read2_b64 v[48:51], v0 offset0:10 offset1:252
	v_add_u32_e32 v0, 0x13c0, v107
	ds_read2_b64 v[52:55], v0 offset0:6 offset1:248
	;; [unrolled: 2-line block ×3, first 2 shown]
	ds_read_b64 v[105:106], v107 offset:12848
.LBB0_7:
	s_or_b64 exec, exec, s[16:17]
	v_mad_u64_u32 v[0:1], s[16:17], v108, 48, s[14:15]
	v_add_u32_e32 v2, 0xffffffa8, v108
	v_cndmask_b32_e64 v2, v2, v40, s[4:5]
	v_mul_hi_i32_i24_e32 v4, 48, v2
	v_mul_i32_i24_e32 v2, 48, v2
	v_mov_b32_e32 v3, s15
	v_add_co_u32_e32 v121, vcc, s14, v2
	global_load_dwordx4 v[36:39], v[0:1], off offset:1848
	global_load_dwordx4 v[32:35], v[0:1], off offset:1864
	;; [unrolled: 1-line block ×3, first 2 shown]
	v_addc_co_u32_e32 v122, vcc, v3, v4, vcc
	global_load_dwordx4 v[0:3], v[121:122], off offset:1848
	global_load_dwordx4 v[8:11], v[121:122], off offset:1864
	;; [unrolled: 1-line block ×3, first 2 shown]
	s_mov_b32 s12, 0x3f5ff5aa
	s_mov_b32 s14, 0x3f3bfb3b
	;; [unrolled: 1-line block ×4, first 2 shown]
	s_waitcnt vmcnt(5) lgkmcnt(3)
	v_mul_f32_e32 v121, v59, v37
	v_mul_f32_e32 v122, v58, v37
	s_waitcnt lgkmcnt(2)
	v_mul_f32_e32 v123, v61, v39
	s_waitcnt vmcnt(4)
	v_mul_f32_e32 v125, v63, v33
	v_mul_f32_e32 v126, v62, v33
	s_waitcnt vmcnt(3) lgkmcnt(1)
	v_mul_f32_e32 v129, v67, v41
	s_waitcnt lgkmcnt(0)
	v_mul_f32_e32 v131, v104, v43
	v_mul_f32_e32 v124, v60, v39
	;; [unrolled: 1-line block ×5, first 2 shown]
	s_waitcnt vmcnt(2)
	v_mul_f32_e32 v134, v50, v1
	v_mul_f32_e32 v135, v53, v3
	s_waitcnt vmcnt(1)
	v_mul_f32_e32 v137, v55, v9
	s_waitcnt vmcnt(0)
	v_mul_f32_e32 v142, v46, v5
	v_fma_f32 v58, v58, v36, -v121
	v_fmac_f32_e32 v122, v59, v36
	v_fma_f32 v59, v60, v38, -v123
	v_fma_f32 v60, v62, v32, -v125
	v_fmac_f32_e32 v126, v63, v32
	v_fma_f32 v62, v66, v40, -v129
	v_fma_f32 v63, v103, v42, -v131
	v_mul_f32_e32 v128, v64, v35
	v_mul_f32_e32 v133, v51, v1
	;; [unrolled: 1-line block ×5, first 2 shown]
	v_fmac_f32_e32 v124, v61, v38
	v_fma_f32 v61, v64, v34, -v127
	v_fmac_f32_e32 v130, v67, v40
	v_fmac_f32_e32 v132, v104, v42
	;; [unrolled: 1-line block ×3, first 2 shown]
	v_fma_f32 v51, v52, v2, -v135
	v_fma_f32 v52, v54, v8, -v137
	v_fmac_f32_e32 v142, v47, v4
	v_add_f32_e32 v47, v58, v63
	v_sub_f32_e32 v54, v58, v63
	v_add_f32_e32 v58, v59, v62
	v_fmac_f32_e32 v128, v65, v34
	v_fmac_f32_e32 v136, v53, v2
	v_add_f32_e32 v53, v122, v132
	v_add_f32_e32 v63, v124, v130
	;; [unrolled: 1-line block ×4, first 2 shown]
	v_mul_f32_e32 v140, v44, v11
	v_mul_f32_e32 v143, v106, v7
	;; [unrolled: 1-line block ×3, first 2 shown]
	v_fmac_f32_e32 v138, v55, v8
	v_sub_f32_e32 v55, v122, v132
	v_sub_f32_e32 v59, v59, v62
	;; [unrolled: 1-line block ×3, first 2 shown]
	v_add_f32_e32 v65, v126, v128
	v_sub_f32_e32 v60, v61, v60
	v_sub_f32_e32 v61, v128, v126
	v_add_f32_e32 v67, v63, v53
	v_sub_f32_e32 v103, v58, v47
	v_sub_f32_e32 v47, v47, v64
	;; [unrolled: 1-line block ×3, first 2 shown]
	v_add_f32_e32 v64, v64, v66
	v_mul_f32_e32 v139, v45, v11
	v_fmac_f32_e32 v140, v45, v10
	v_fma_f32 v45, v46, v4, -v141
	v_fma_f32 v46, v105, v6, -v143
	v_fmac_f32_e32 v144, v106, v6
	v_sub_f32_e32 v104, v63, v53
	v_sub_f32_e32 v53, v53, v65
	;; [unrolled: 1-line block ×3, first 2 shown]
	v_add_f32_e32 v63, v60, v59
	v_add_f32_e32 v106, v61, v62
	v_sub_f32_e32 v122, v61, v62
	v_sub_f32_e32 v123, v62, v55
	v_add_f32_e32 v65, v65, v67
	v_add_f32_e32 v62, v56, v64
	v_sub_f32_e32 v121, v60, v59
	v_sub_f32_e32 v60, v54, v60
	;; [unrolled: 1-line block ×4, first 2 shown]
	v_add_f32_e32 v54, v63, v54
	v_add_f32_e32 v55, v106, v55
	v_add_f32_e32 v63, v57, v65
	v_mov_b32_e32 v106, v62
	v_mul_f32_e32 v47, 0x3f4a47b2, v47
	v_mul_f32_e32 v53, 0x3f4a47b2, v53
	;; [unrolled: 1-line block ×5, first 2 shown]
	v_fmac_f32_e32 v106, 0xbf955555, v64
	v_mov_b32_e32 v64, v63
	v_mul_f32_e32 v57, 0x3d64c772, v105
	v_mul_f32_e32 v66, 0x3f5ff5aa, v59
	;; [unrolled: 1-line block ×3, first 2 shown]
	v_fmac_f32_e32 v64, 0xbf955555, v65
	v_fma_f32 v56, v103, s14, -v56
	v_fma_f32 v65, v103, s15, -v47
	v_fmac_f32_e32 v47, 0x3d64c772, v58
	v_fma_f32 v58, v104, s15, -v53
	v_fmac_f32_e32 v53, 0x3d64c772, v105
	;; [unrolled: 2-line block ×4, first 2 shown]
	v_fma_f32 v50, v50, v0, -v133
	v_fma_f32 v57, v104, s14, -v57
	;; [unrolled: 1-line block ×4, first 2 shown]
	v_add_f32_e32 v47, v47, v106
	v_add_f32_e32 v53, v53, v64
	v_fmac_f32_e32 v126, 0x3ee1c552, v54
	v_fmac_f32_e32 v125, 0x3ee1c552, v55
	v_fma_f32 v44, v44, v10, -v139
	v_add_f32_e32 v56, v56, v106
	v_add_f32_e32 v57, v57, v64
	;; [unrolled: 1-line block ×4, first 2 shown]
	v_fmac_f32_e32 v59, 0x3ee1c552, v54
	v_fmac_f32_e32 v103, 0x3ee1c552, v55
	;; [unrolled: 1-line block ×4, first 2 shown]
	v_add_f32_e32 v64, v125, v47
	v_sub_f32_e32 v65, v53, v126
	v_sub_f32_e32 v125, v47, v125
	v_add_f32_e32 v126, v126, v53
	v_add_f32_e32 v47, v50, v46
	;; [unrolled: 1-line block ×5, first 2 shown]
	v_sub_f32_e32 v67, v58, v60
	v_sub_f32_e32 v105, v56, v103
	v_add_f32_e32 v106, v59, v57
	v_add_f32_e32 v121, v103, v56
	v_sub_f32_e32 v122, v57, v59
	v_add_f32_e32 v124, v60, v58
	v_sub_f32_e32 v46, v50, v46
	v_sub_f32_e32 v50, v134, v144
	;; [unrolled: 1-line block ×4, first 2 shown]
	v_add_f32_e32 v56, v52, v44
	v_add_f32_e32 v57, v138, v140
	v_sub_f32_e32 v44, v44, v52
	v_sub_f32_e32 v52, v140, v138
	v_add_f32_e32 v58, v54, v47
	v_add_f32_e32 v59, v55, v53
	v_add_f32_e32 v66, v61, v104
	v_sub_f32_e32 v123, v104, v61
	v_sub_f32_e32 v60, v54, v47
	;; [unrolled: 1-line block ×4, first 2 shown]
	v_add_f32_e32 v104, v52, v51
	v_sub_f32_e32 v128, v52, v51
	v_sub_f32_e32 v129, v50, v52
	v_add_f32_e32 v52, v56, v58
	v_add_f32_e32 v56, v57, v59
	v_sub_f32_e32 v61, v55, v53
	v_sub_f32_e32 v53, v53, v57
	;; [unrolled: 1-line block ×3, first 2 shown]
	v_add_f32_e32 v103, v44, v45
	v_sub_f32_e32 v127, v44, v45
	v_sub_f32_e32 v45, v45, v46
	;; [unrolled: 1-line block ×3, first 2 shown]
	v_add_f32_e32 v48, v48, v52
	v_add_f32_e32 v49, v49, v56
	v_sub_f32_e32 v44, v46, v44
	v_add_f32_e32 v46, v103, v46
	v_add_f32_e32 v103, v104, v50
	v_mul_f32_e32 v47, 0x3f4a47b2, v47
	v_mul_f32_e32 v57, 0x3f4a47b2, v53
	;; [unrolled: 1-line block ×8, first 2 shown]
	v_mov_b32_e32 v127, v48
	v_mov_b32_e32 v128, v49
	v_fmac_f32_e32 v127, 0xbf955555, v52
	v_fmac_f32_e32 v128, 0xbf955555, v56
	v_fma_f32 v131, v60, s14, -v53
	v_fma_f32 v132, v61, s14, -v58
	;; [unrolled: 1-line block ×3, first 2 shown]
	v_fmac_f32_e32 v47, 0x3d64c772, v54
	v_fma_f32 v61, v61, s15, -v57
	v_fmac_f32_e32 v57, 0x3d64c772, v55
	v_fma_f32 v52, v45, s12, -v50
	;; [unrolled: 2-line block ×4, first 2 shown]
	v_fma_f32 v56, v129, s16, -v104
	v_add_f32_e32 v54, v47, v127
	v_add_f32_e32 v57, v57, v128
	;; [unrolled: 1-line block ×6, first 2 shown]
	v_fmac_f32_e32 v50, 0x3ee1c552, v46
	v_fmac_f32_e32 v51, 0x3ee1c552, v103
	;; [unrolled: 1-line block ×6, first 2 shown]
	v_add_f32_e32 v44, v53, v58
	v_sub_f32_e32 v45, v60, v52
	v_sub_f32_e32 v46, v59, v56
	v_add_f32_e32 v47, v55, v61
	v_sub_f32_e32 v103, v54, v51
	v_add_f32_e32 v104, v50, v57
	ds_write2_b64 v107, v[62:63], v[64:65] offset1:242
	ds_write2_b64 v120, v[66:67], v[105:106] offset0:4 offset1:246
	ds_write2_b64 v119, v[121:122], v[123:124] offset0:8 offset1:250
	ds_write_b64 v107, v[125:126] offset:11616
	s_and_saveexec_b64 s[14:15], s[4:5]
	s_cbranch_execz .LBB0_9
; %bb.8:
	v_sub_f32_e32 v62, v58, v53
	v_sub_f32_e32 v53, v61, v55
	;; [unrolled: 1-line block ×3, first 2 shown]
	v_add_f32_e32 v54, v51, v54
	v_add_u32_e32 v50, 0x480, v107
	v_add_f32_e32 v63, v52, v60
	v_add_f32_e32 v52, v56, v59
	ds_write2_b64 v50, v[48:49], v[54:55] offset0:10 offset1:252
	v_add_u32_e32 v48, 0x13c0, v107
	ds_write2_b64 v48, v[52:53], v[62:63] offset0:6 offset1:248
	v_add_u32_e32 v48, 0x2300, v107
	ds_write2_b64 v48, v[44:45], v[46:47] offset0:2 offset1:244
	ds_write_b64 v107, v[103:104] offset:12848
.LBB0_9:
	s_or_b64 exec, exec, s[14:15]
	v_mov_b32_e32 v48, s13
	v_addc_co_u32_e64 v56, vcc, 0, v48, s[2:3]
	v_add_co_u32_e32 v48, vcc, 0x34f0, v109
	s_mov_b64 s[2:3], vcc
	v_add_co_u32_e32 v49, vcc, 0x3000, v109
	v_addc_co_u32_e32 v50, vcc, 0, v56, vcc
	s_waitcnt lgkmcnt(0)
	s_barrier
	global_load_dwordx2 v[52:53], v[49:50], off offset:1264
	v_addc_co_u32_e64 v49, vcc, 0, v56, s[2:3]
	s_movk_i32 s2, 0x4000
	global_load_dwordx2 v[54:55], v[48:49], off offset:1232
	global_load_dwordx2 v[64:65], v[48:49], off offset:2464
	;; [unrolled: 1-line block ×3, first 2 shown]
	v_add_co_u32_e32 v48, vcc, s2, v109
	v_addc_co_u32_e32 v49, vcc, 0, v56, vcc
	s_movk_i32 s2, 0x5000
	v_add_co_u32_e32 v50, vcc, s2, v109
	v_addc_co_u32_e32 v51, vcc, 0, v56, vcc
	s_movk_i32 s2, 0x6000
	global_load_dwordx2 v[105:106], v[48:49], off offset:2096
	global_load_dwordx2 v[119:120], v[48:49], off offset:3328
	;; [unrolled: 1-line block ×5, first 2 shown]
	v_add_co_u32_e32 v48, vcc, s2, v109
	v_addc_co_u32_e32 v49, vcc, 0, v56, vcc
	global_load_dwordx2 v[127:128], v[48:49], off offset:64
	global_load_dwordx2 v[129:130], v[48:49], off offset:1296
	ds_read2_b64 v[48:51], v107 offset1:154
	v_add_u32_e32 v109, 0x800, v107
	v_add_u32_e32 v135, 0x1200, v107
	;; [unrolled: 1-line block ×4, first 2 shown]
	s_mov_b32 s12, 0x3f575c64
	s_mov_b32 s2, 0x3ed4b147
	;; [unrolled: 1-line block ×5, first 2 shown]
	s_waitcnt vmcnt(10) lgkmcnt(0)
	v_mul_f32_e32 v57, v49, v53
	v_mul_f32_e32 v56, v48, v53
	s_waitcnt vmcnt(9)
	v_mul_f32_e32 v58, v51, v55
	v_mul_f32_e32 v53, v50, v55
	v_fma_f32 v55, v48, v52, -v57
	v_fmac_f32_e32 v56, v49, v52
	v_fma_f32 v52, v50, v54, -v58
	v_fmac_f32_e32 v53, v51, v54
	ds_write2_b64 v107, v[55:56], v[52:53] offset1:154
	ds_read2_b64 v[48:51], v109 offset0:52 offset1:206
	ds_read2_b64 v[52:55], v135 offset0:40 offset1:194
	;; [unrolled: 1-line block ×4, first 2 shown]
	ds_read_b64 v[131:132], v107 offset:12320
	s_waitcnt vmcnt(8) lgkmcnt(4)
	v_mul_f32_e32 v134, v48, v65
	v_mul_f32_e32 v133, v49, v65
	s_waitcnt vmcnt(7)
	v_mul_f32_e32 v138, v51, v67
	v_mul_f32_e32 v65, v50, v67
	s_waitcnt vmcnt(6) lgkmcnt(3)
	v_mul_f32_e32 v139, v53, v106
	v_mul_f32_e32 v67, v52, v106
	s_waitcnt vmcnt(5)
	v_mul_f32_e32 v140, v55, v120
	v_mul_f32_e32 v106, v54, v120
	;; [unrolled: 6-line block ×3, first 2 shown]
	s_waitcnt vmcnt(2) lgkmcnt(1)
	v_mul_f32_e32 v143, v61, v126
	v_mul_f32_e32 v124, v60, v126
	s_waitcnt vmcnt(1)
	v_mul_f32_e32 v126, v63, v128
	v_fmac_f32_e32 v134, v49, v64
	v_mul_f32_e32 v49, v62, v128
	v_fma_f32 v133, v48, v64, -v133
	v_fma_f32 v64, v50, v66, -v138
	v_fmac_f32_e32 v65, v51, v66
	v_fma_f32 v66, v52, v105, -v139
	v_fmac_f32_e32 v67, v53, v105
	;; [unrolled: 2-line block ×7, first 2 shown]
	ds_write2_b64 v109, v[133:134], v[64:65] offset0:52 offset1:206
	ds_write2_b64 v135, v[66:67], v[105:106] offset0:40 offset1:194
	;; [unrolled: 1-line block ×4, first 2 shown]
	s_waitcnt vmcnt(0) lgkmcnt(4)
	v_mul_f32_e32 v48, v132, v130
	v_mul_f32_e32 v49, v131, v130
	v_fma_f32 v48, v131, v129, -v48
	v_fmac_f32_e32 v49, v132, v129
	ds_write_b64 v107, v[48:49] offset:12320
	s_waitcnt lgkmcnt(0)
	s_barrier
	ds_read2_b64 v[48:51], v107 offset1:154
	ds_read2_b64 v[52:55], v109 offset0:52 offset1:206
	ds_read2_b64 v[56:59], v135 offset0:40 offset1:194
	;; [unrolled: 1-line block ×4, first 2 shown]
	ds_read_b64 v[105:106], v107 offset:12320
	s_waitcnt lgkmcnt(5)
	v_add_f32_e32 v119, v48, v50
	v_add_f32_e32 v120, v49, v51
	s_waitcnt lgkmcnt(4)
	v_add_f32_e32 v119, v119, v52
	v_add_f32_e32 v120, v120, v53
	v_add_f32_e32 v119, v119, v54
	v_add_f32_e32 v120, v120, v55
	s_waitcnt lgkmcnt(3)
	v_add_f32_e32 v119, v119, v56
	v_add_f32_e32 v120, v120, v57
	;; [unrolled: 5-line block ×4, first 2 shown]
	v_add_f32_e32 v119, v119, v66
	s_waitcnt lgkmcnt(0)
	v_add_f32_e32 v122, v106, v51
	v_sub_f32_e32 v51, v51, v106
	v_add_f32_e32 v120, v120, v67
	v_add_f32_e32 v119, v119, v105
	;; [unrolled: 1-line block ×3, first 2 shown]
	v_sub_f32_e32 v50, v50, v105
	v_mul_f32_e32 v105, 0xbf0a6770, v51
	v_mul_f32_e32 v125, 0xbf68dda4, v51
	;; [unrolled: 1-line block ×5, first 2 shown]
	v_add_f32_e32 v120, v120, v106
	v_mov_b32_e32 v106, v105
	v_mov_b32_e32 v126, v125
	;; [unrolled: 1-line block ×5, first 2 shown]
	v_fmac_f32_e32 v106, 0x3f575c64, v121
	v_mul_f32_e32 v123, 0x3f575c64, v122
	v_fma_f32 v105, v121, s12, -v105
	v_fmac_f32_e32 v126, 0x3ed4b147, v121
	v_mul_f32_e32 v127, 0x3ed4b147, v122
	v_fma_f32 v125, v121, s2, -v125
	;; [unrolled: 3-line block ×5, first 2 shown]
	v_add_f32_e32 v106, v48, v106
	v_mov_b32_e32 v124, v123
	v_add_f32_e32 v105, v48, v105
	v_add_f32_e32 v126, v48, v126
	v_mov_b32_e32 v128, v127
	v_add_f32_e32 v125, v48, v125
	v_add_f32_e32 v130, v48, v130
	v_mov_b32_e32 v132, v131
	v_add_f32_e32 v129, v48, v129
	v_add_f32_e32 v134, v48, v134
	v_mov_b32_e32 v136, v135
	v_add_f32_e32 v133, v48, v133
	v_add_f32_e32 v137, v48, v137
	v_mov_b32_e32 v138, v122
	v_add_f32_e32 v48, v48, v51
	v_add_f32_e32 v51, v67, v53
	v_sub_f32_e32 v53, v53, v67
	v_fmac_f32_e32 v124, 0x3f0a6770, v50
	v_fmac_f32_e32 v123, 0xbf0a6770, v50
	;; [unrolled: 1-line block ×10, first 2 shown]
	v_add_f32_e32 v50, v66, v52
	v_sub_f32_e32 v52, v52, v66
	v_mul_f32_e32 v66, 0xbf68dda4, v53
	v_mov_b32_e32 v67, v66
	v_fmac_f32_e32 v67, 0x3ed4b147, v50
	v_add_f32_e32 v67, v67, v106
	v_mul_f32_e32 v106, 0x3ed4b147, v51
	v_add_f32_e32 v123, v49, v123
	v_mov_b32_e32 v121, v106
	v_fma_f32 v66, v50, s2, -v66
	v_fmac_f32_e32 v106, 0xbf68dda4, v52
	v_add_f32_e32 v66, v66, v105
	v_add_f32_e32 v105, v106, v123
	v_mul_f32_e32 v106, 0xbf4178ce, v53
	v_add_f32_e32 v124, v49, v124
	v_add_f32_e32 v128, v49, v128
	;; [unrolled: 1-line block ×9, first 2 shown]
	v_mov_b32_e32 v122, v106
	v_fma_f32 v106, v50, s13, -v106
	v_fmac_f32_e32 v121, 0x3f68dda4, v52
	v_fmac_f32_e32 v122, 0xbf27a4f4, v50
	v_mul_f32_e32 v123, 0xbf27a4f4, v51
	v_add_f32_e32 v106, v106, v125
	v_mul_f32_e32 v125, 0x3e903f40, v53
	v_add_f32_e32 v121, v121, v124
	v_add_f32_e32 v122, v122, v126
	v_mov_b32_e32 v124, v123
	v_fmac_f32_e32 v123, 0xbf4178ce, v52
	v_mov_b32_e32 v126, v125
	v_fma_f32 v125, v50, s14, -v125
	v_fmac_f32_e32 v124, 0x3f4178ce, v52
	v_add_f32_e32 v123, v123, v127
	v_fmac_f32_e32 v126, 0xbf75a155, v50
	v_mul_f32_e32 v127, 0xbf75a155, v51
	v_add_f32_e32 v125, v125, v129
	v_mul_f32_e32 v129, 0x3f7d64f0, v53
	v_add_f32_e32 v124, v124, v128
	v_add_f32_e32 v126, v126, v130
	v_mov_b32_e32 v128, v127
	v_fmac_f32_e32 v127, 0x3e903f40, v52
	v_mov_b32_e32 v130, v129
	v_fma_f32 v129, v50, s3, -v129
	v_mul_f32_e32 v53, 0x3f0a6770, v53
	v_fmac_f32_e32 v128, 0xbe903f40, v52
	v_add_f32_e32 v127, v127, v131
	v_fmac_f32_e32 v130, 0xbe11bafb, v50
	v_mul_f32_e32 v131, 0xbe11bafb, v51
	v_add_f32_e32 v129, v129, v133
	v_mov_b32_e32 v133, v53
	v_mul_f32_e32 v51, 0x3f575c64, v51
	v_add_f32_e32 v128, v128, v132
	v_add_f32_e32 v130, v130, v134
	v_mov_b32_e32 v132, v131
	v_fmac_f32_e32 v133, 0x3f575c64, v50
	v_mov_b32_e32 v134, v51
	v_fma_f32 v50, v50, s12, -v53
	v_sub_f32_e32 v53, v55, v65
	v_fmac_f32_e32 v132, 0xbf7d64f0, v52
	v_fmac_f32_e32 v131, 0x3f7d64f0, v52
	;; [unrolled: 1-line block ×3, first 2 shown]
	v_add_f32_e32 v48, v50, v48
	v_fmac_f32_e32 v51, 0x3f0a6770, v52
	v_add_f32_e32 v50, v64, v54
	v_sub_f32_e32 v52, v54, v64
	v_mul_f32_e32 v54, 0xbf7d64f0, v53
	v_add_f32_e32 v49, v51, v49
	v_add_f32_e32 v51, v65, v55
	v_mov_b32_e32 v55, v54
	v_fma_f32 v54, v50, s3, -v54
	v_fmac_f32_e32 v55, 0xbe11bafb, v50
	v_mul_f32_e32 v64, 0xbe11bafb, v51
	v_add_f32_e32 v54, v54, v66
	v_mul_f32_e32 v66, 0x3e903f40, v53
	v_add_f32_e32 v55, v55, v67
	v_mov_b32_e32 v65, v64
	v_fmac_f32_e32 v64, 0xbf7d64f0, v52
	v_mov_b32_e32 v67, v66
	v_fma_f32 v66, v50, s14, -v66
	v_fmac_f32_e32 v65, 0x3f7d64f0, v52
	v_add_f32_e32 v64, v64, v105
	v_fmac_f32_e32 v67, 0xbf75a155, v50
	v_mul_f32_e32 v105, 0xbf75a155, v51
	v_add_f32_e32 v66, v66, v106
	v_mul_f32_e32 v106, 0x3f68dda4, v53
	v_add_f32_e32 v65, v65, v121
	v_add_f32_e32 v67, v67, v122
	v_mov_b32_e32 v121, v105
	v_fmac_f32_e32 v105, 0x3e903f40, v52
	v_mov_b32_e32 v122, v106
	v_fma_f32 v106, v50, s2, -v106
	v_fmac_f32_e32 v121, 0xbe903f40, v52
	v_add_f32_e32 v105, v105, v123
	v_fmac_f32_e32 v122, 0x3ed4b147, v50
	v_mul_f32_e32 v123, 0x3ed4b147, v51
	v_add_f32_e32 v106, v106, v125
	v_mul_f32_e32 v125, 0xbf0a6770, v53
	v_add_f32_e32 v121, v121, v124
	v_add_f32_e32 v122, v122, v126
	v_mov_b32_e32 v124, v123
	v_fmac_f32_e32 v123, 0x3f68dda4, v52
	v_mov_b32_e32 v126, v125
	v_fma_f32 v125, v50, s12, -v125
	v_mul_f32_e32 v53, 0xbf4178ce, v53
	v_fmac_f32_e32 v124, 0xbf68dda4, v52
	v_add_f32_e32 v123, v123, v127
	v_fmac_f32_e32 v126, 0x3f575c64, v50
	v_mul_f32_e32 v127, 0x3f575c64, v51
	v_add_f32_e32 v125, v125, v129
	v_mov_b32_e32 v129, v53
	v_mul_f32_e32 v51, 0xbf27a4f4, v51
	v_add_f32_e32 v124, v124, v128
	v_add_f32_e32 v126, v126, v130
	v_mov_b32_e32 v128, v127
	v_fmac_f32_e32 v129, 0xbf27a4f4, v50
	v_mov_b32_e32 v130, v51
	v_fma_f32 v50, v50, s13, -v53
	v_sub_f32_e32 v53, v57, v63
	v_fmac_f32_e32 v128, 0x3f0a6770, v52
	v_fmac_f32_e32 v127, 0xbf0a6770, v52
	;; [unrolled: 1-line block ×3, first 2 shown]
	v_add_f32_e32 v48, v50, v48
	v_fmac_f32_e32 v51, 0xbf4178ce, v52
	v_add_f32_e32 v50, v62, v56
	v_sub_f32_e32 v52, v56, v62
	v_mul_f32_e32 v56, 0xbf4178ce, v53
	v_add_f32_e32 v49, v51, v49
	v_add_f32_e32 v51, v63, v57
	v_mov_b32_e32 v57, v56
	v_fmac_f32_e32 v57, 0xbf27a4f4, v50
	v_add_f32_e32 v55, v57, v55
	v_mul_f32_e32 v57, 0xbf27a4f4, v51
	v_mov_b32_e32 v62, v57
	v_fma_f32 v56, v50, s13, -v56
	v_fmac_f32_e32 v57, 0xbf4178ce, v52
	v_add_f32_e32 v54, v56, v54
	v_add_f32_e32 v56, v57, v64
	v_mul_f32_e32 v57, 0x3f7d64f0, v53
	v_fmac_f32_e32 v62, 0x3f4178ce, v52
	v_mov_b32_e32 v63, v57
	v_mul_f32_e32 v64, 0xbe11bafb, v51
	v_fma_f32 v57, v50, s3, -v57
	v_add_f32_e32 v62, v62, v65
	v_fmac_f32_e32 v63, 0xbe11bafb, v50
	v_mov_b32_e32 v65, v64
	v_add_f32_e32 v57, v57, v66
	v_fmac_f32_e32 v64, 0x3f7d64f0, v52
	v_mul_f32_e32 v66, 0xbf0a6770, v53
	v_add_f32_e32 v63, v63, v67
	v_fmac_f32_e32 v65, 0xbf7d64f0, v52
	v_add_f32_e32 v64, v64, v105
	v_mov_b32_e32 v67, v66
	v_mul_f32_e32 v105, 0x3f575c64, v51
	v_add_f32_e32 v65, v65, v121
	v_fmac_f32_e32 v67, 0x3f575c64, v50
	v_mov_b32_e32 v121, v105
	v_fmac_f32_e32 v105, 0xbf0a6770, v52
	v_add_f32_e32 v67, v67, v122
	v_fma_f32 v66, v50, s12, -v66
	v_add_f32_e32 v122, v105, v123
	v_mul_f32_e32 v105, 0xbe903f40, v53
	v_add_f32_e32 v66, v66, v106
	v_mov_b32_e32 v106, v105
	v_fmac_f32_e32 v106, 0xbf75a155, v50
	v_fma_f32 v105, v50, s14, -v105
	v_mul_f32_e32 v53, 0x3f68dda4, v53
	v_add_f32_e32 v131, v131, v135
	v_add_f32_e32 v133, v133, v137
	v_fmac_f32_e32 v121, 0x3f0a6770, v52
	v_add_f32_e32 v123, v106, v126
	v_mul_f32_e32 v106, 0xbf75a155, v51
	v_add_f32_e32 v125, v105, v125
	v_mov_b32_e32 v105, v53
	v_add_f32_e32 v127, v127, v131
	v_add_f32_e32 v129, v129, v133
	;; [unrolled: 1-line block ×3, first 2 shown]
	v_mov_b32_e32 v124, v106
	v_fmac_f32_e32 v106, 0xbe903f40, v52
	v_fmac_f32_e32 v105, 0x3ed4b147, v50
	v_mul_f32_e32 v51, 0x3ed4b147, v51
	v_add_f32_e32 v132, v132, v136
	v_add_f32_e32 v134, v134, v138
	;; [unrolled: 1-line block ×4, first 2 shown]
	v_mov_b32_e32 v105, v51
	v_add_f32_e32 v128, v128, v132
	v_add_f32_e32 v130, v130, v134
	v_fmac_f32_e32 v124, 0x3e903f40, v52
	v_fmac_f32_e32 v105, 0xbf68dda4, v52
	;; [unrolled: 1-line block ×3, first 2 shown]
	v_add_f32_e32 v132, v61, v59
	v_add_f32_e32 v124, v124, v128
	;; [unrolled: 1-line block ×3, first 2 shown]
	v_fma_f32 v50, v50, s2, -v53
	v_add_f32_e32 v130, v51, v49
	v_sub_f32_e32 v133, v58, v60
	v_sub_f32_e32 v134, v59, v61
	v_mul_f32_e32 v51, 0xbf75a155, v132
	v_add_f32_e32 v129, v50, v48
	v_add_f32_e32 v131, v60, v58
	v_mul_f32_e32 v50, 0xbe903f40, v134
	v_mov_b32_e32 v49, v51
	v_fmac_f32_e32 v51, 0xbe903f40, v133
	v_mul_f32_e32 v53, 0x3f575c64, v132
	v_mov_b32_e32 v48, v50
	v_fma_f32 v50, v131, s14, -v50
	v_add_f32_e32 v106, v51, v56
	v_mul_f32_e32 v52, 0x3f0a6770, v134
	v_mov_b32_e32 v51, v53
	v_add_f32_e32 v105, v50, v54
	v_mov_b32_e32 v50, v52
	v_fmac_f32_e32 v51, 0xbf0a6770, v133
	v_fma_f32 v52, v131, s12, -v52
	v_fmac_f32_e32 v53, 0x3f0a6770, v133
	v_fmac_f32_e32 v48, 0xbf75a155, v131
	;; [unrolled: 1-line block ×4, first 2 shown]
	v_add_f32_e32 v51, v51, v65
	v_add_f32_e32 v52, v52, v57
	;; [unrolled: 1-line block ×3, first 2 shown]
	v_mul_f32_e32 v56, 0xbf4178ce, v134
	v_mul_f32_e32 v57, 0xbf27a4f4, v132
	;; [unrolled: 1-line block ×6, first 2 shown]
	v_add_f32_e32 v48, v48, v55
	v_add_f32_e32 v49, v49, v62
	;; [unrolled: 1-line block ×3, first 2 shown]
	v_mov_b32_e32 v54, v56
	v_mov_b32_e32 v55, v57
	v_fma_f32 v56, v131, s13, -v56
	v_mov_b32_e32 v58, v60
	v_mov_b32_e32 v59, v61
	v_fma_f32 v60, v131, s2, -v60
	v_mov_b32_e32 v62, v64
	v_mov_b32_e32 v63, v65
	v_fmac_f32_e32 v54, 0xbf27a4f4, v131
	v_fmac_f32_e32 v55, 0x3f4178ce, v133
	v_add_f32_e32 v56, v56, v66
	v_fmac_f32_e32 v57, 0xbf4178ce, v133
	v_fmac_f32_e32 v58, 0x3ed4b147, v131
	;; [unrolled: 1-line block ×3, first 2 shown]
	v_add_f32_e32 v60, v60, v125
	v_fmac_f32_e32 v61, 0x3f68dda4, v133
	v_fmac_f32_e32 v62, 0xbe11bafb, v131
	;; [unrolled: 1-line block ×3, first 2 shown]
	v_fma_f32 v64, v131, s3, -v64
	v_fmac_f32_e32 v65, 0xbf7d64f0, v133
	v_add_f32_e32 v54, v54, v67
	v_add_f32_e32 v55, v55, v121
	;; [unrolled: 1-line block ×10, first 2 shown]
	s_barrier
	ds_write2_b64 v110, v[119:120], v[48:49] offset1:1
	ds_write2_b64 v110, v[50:51], v[54:55] offset0:2 offset1:3
	ds_write2_b64 v110, v[58:59], v[62:63] offset0:4 offset1:5
	;; [unrolled: 1-line block ×4, first 2 shown]
	ds_write_b64 v110, v[105:106] offset:80
	v_add_u32_e32 v48, 0x1300, v107
	v_add_u32_e32 v56, 0x1e00, v107
	;; [unrolled: 1-line block ×3, first 2 shown]
	s_waitcnt lgkmcnt(0)
	s_barrier
	ds_read2_b64 v[52:55], v107 offset1:154
	ds_read2_b64 v[48:51], v48 offset0:8 offset1:239
	ds_read2_b64 v[64:67], v56 offset0:41 offset1:195
	;; [unrolled: 1-line block ×4, first 2 shown]
	s_and_saveexec_b64 s[2:3], s[0:1]
	s_cbranch_execz .LBB0_11
; %bb.10:
	ds_read_b64 v[105:106], v107 offset:6160
	ds_read_b64 v[44:45], v107 offset:12936
.LBB0_11:
	s_or_b64 exec, exec, s[2:3]
	s_waitcnt lgkmcnt(3)
	v_mul_f32_e32 v109, v92, v51
	v_fmac_f32_e32 v109, v91, v50
	v_mul_f32_e32 v50, v92, v50
	v_fma_f32 v51, v91, v51, -v50
	s_waitcnt lgkmcnt(2)
	v_mul_f32_e32 v91, v94, v65
	v_mul_f32_e32 v50, v94, v64
	v_fmac_f32_e32 v91, v93, v64
	v_fma_f32 v64, v93, v65, -v50
	v_mul_f32_e32 v65, v96, v67
	v_mul_f32_e32 v50, v96, v66
	v_fmac_f32_e32 v65, v95, v66
	v_fma_f32 v66, v95, v67, -v50
	s_waitcnt lgkmcnt(0)
	v_mul_f32_e32 v50, v98, v60
	v_mul_f32_e32 v95, v102, v45
	;; [unrolled: 1-line block ×3, first 2 shown]
	v_fma_f32 v92, v97, v61, -v50
	v_mul_f32_e32 v93, v100, v63
	v_mul_f32_e32 v50, v100, v62
	v_fmac_f32_e32 v95, v101, v44
	v_mul_f32_e32 v44, v102, v44
	v_fmac_f32_e32 v67, v97, v60
	v_fmac_f32_e32 v93, v99, v62
	v_fma_f32 v94, v99, v63, -v50
	v_fma_f32 v45, v101, v45, -v44
	v_sub_f32_e32 v50, v52, v109
	v_sub_f32_e32 v51, v53, v51
	v_fma_f32 v52, v52, 2.0, -v50
	v_fma_f32 v53, v53, 2.0, -v51
	v_sub_f32_e32 v60, v54, v91
	v_sub_f32_e32 v61, v55, v64
	;; [unrolled: 1-line block ×10, first 2 shown]
	v_fma_f32 v54, v54, 2.0, -v60
	v_fma_f32 v55, v55, 2.0, -v61
	;; [unrolled: 1-line block ×8, first 2 shown]
	s_barrier
	ds_write2_b64 v113, v[52:53], v[50:51] offset1:11
	ds_write2_b64 v114, v[54:55], v[60:61] offset1:11
	;; [unrolled: 1-line block ×5, first 2 shown]
	s_and_saveexec_b64 s[2:3], s[0:1]
	s_cbranch_execz .LBB0_13
; %bb.12:
	v_mad_legacy_u16 v50, v111, 22, v112
	v_fma_f32 v49, v106, 2.0, -v45
	v_fma_f32 v48, v105, 2.0, -v44
	v_lshlrev_b32_e32 v50, 3, v50
	ds_write2_b64 v50, v[48:49], v[44:45] offset1:11
.LBB0_13:
	s_or_b64 exec, exec, s[2:3]
	s_waitcnt lgkmcnt(0)
	s_barrier
	ds_read2_b64 v[48:51], v107 offset1:154
	v_add_u32_e32 v52, 0x800, v107
	ds_read2_b64 v[52:55], v52 offset0:52 offset1:206
	v_add_u32_e32 v56, 0x1200, v107
	ds_read2_b64 v[56:59], v56 offset0:40 offset1:194
	;; [unrolled: 2-line block ×3, first 2 shown]
	s_waitcnt lgkmcnt(3)
	v_mul_f32_e32 v93, v25, v51
	v_mul_f32_e32 v25, v25, v50
	v_add_u32_e32 v64, 0x2400, v107
	v_fmac_f32_e32 v93, v24, v50
	v_fma_f32 v24, v24, v51, -v25
	s_waitcnt lgkmcnt(2)
	v_mul_f32_e32 v25, v27, v53
	v_mul_f32_e32 v27, v27, v52
	ds_read2_b64 v[64:67], v64 offset0:80 offset1:234
	ds_read_b64 v[91:92], v107 offset:12320
	v_fmac_f32_e32 v25, v26, v52
	v_fma_f32 v26, v26, v53, -v27
	v_mul_f32_e32 v27, v21, v55
	v_mul_f32_e32 v21, v21, v54
	v_fmac_f32_e32 v27, v20, v54
	v_fma_f32 v50, v20, v55, -v21
	s_waitcnt lgkmcnt(3)
	v_mul_f32_e32 v51, v23, v57
	v_mul_f32_e32 v20, v23, v56
	;; [unrolled: 1-line block ×4, first 2 shown]
	v_fmac_f32_e32 v23, v16, v58
	v_fma_f32 v16, v16, v59, -v17
	s_waitcnt lgkmcnt(2)
	v_mul_f32_e32 v17, v19, v61
	v_mul_f32_e32 v19, v19, v60
	v_fmac_f32_e32 v17, v18, v60
	v_fma_f32 v18, v18, v61, -v19
	v_mul_f32_e32 v19, v13, v63
	v_mul_f32_e32 v13, v13, v62
	v_fmac_f32_e32 v19, v12, v62
	v_fma_f32 v12, v12, v63, -v13
	s_waitcnt lgkmcnt(1)
	v_mul_f32_e32 v13, v15, v65
	v_mul_f32_e32 v15, v15, v64
	v_fmac_f32_e32 v51, v22, v56
	v_fma_f32 v22, v22, v57, -v20
	v_fmac_f32_e32 v13, v14, v64
	v_fma_f32 v14, v14, v65, -v15
	v_mul_f32_e32 v15, v29, v67
	v_mul_f32_e32 v20, v29, v66
	v_add_f32_e32 v21, v49, v24
	v_fmac_f32_e32 v15, v28, v66
	v_fma_f32 v28, v28, v67, -v20
	s_waitcnt lgkmcnt(0)
	v_mul_f32_e32 v29, v31, v92
	v_mul_f32_e32 v20, v31, v91
	v_add_f32_e32 v21, v21, v26
	v_fmac_f32_e32 v29, v30, v91
	v_fma_f32 v30, v30, v92, -v20
	v_add_f32_e32 v20, v48, v93
	v_add_f32_e32 v21, v21, v50
	;; [unrolled: 1-line block ×15, first 2 shown]
	v_sub_f32_e32 v24, v24, v30
	v_add_f32_e32 v20, v20, v13
	v_add_f32_e32 v21, v21, v30
	v_mul_f32_e32 v30, 0xbf0a6770, v24
	v_mul_f32_e32 v56, 0xbf68dda4, v24
	;; [unrolled: 1-line block ×5, first 2 shown]
	v_add_f32_e32 v20, v20, v15
	v_add_f32_e32 v31, v93, v29
	s_mov_b32 s2, 0x3f575c64
	v_mov_b32_e32 v53, v30
	v_mul_f32_e32 v54, 0x3f575c64, v52
	s_mov_b32 s0, 0x3ed4b147
	v_mov_b32_e32 v57, v56
	v_mul_f32_e32 v58, 0x3ed4b147, v52
	;; [unrolled: 3-line block ×5, first 2 shown]
	v_add_f32_e32 v20, v20, v29
	v_sub_f32_e32 v29, v93, v29
	v_fmac_f32_e32 v53, 0x3f575c64, v31
	v_mov_b32_e32 v55, v54
	v_fma_f32 v30, v31, s2, -v30
	v_fmac_f32_e32 v57, 0x3ed4b147, v31
	v_mov_b32_e32 v59, v58
	v_fma_f32 v56, v31, s0, -v56
	;; [unrolled: 3-line block ×5, first 2 shown]
	v_add_f32_e32 v53, v48, v53
	v_fmac_f32_e32 v55, 0x3f0a6770, v29
	v_add_f32_e32 v30, v48, v30
	v_fmac_f32_e32 v54, 0xbf0a6770, v29
	;; [unrolled: 2-line block ×10, first 2 shown]
	v_add_f32_e32 v31, v25, v15
	v_add_f32_e32 v48, v26, v28
	v_sub_f32_e32 v15, v25, v15
	v_sub_f32_e32 v25, v26, v28
	v_add_f32_e32 v55, v49, v55
	v_add_f32_e32 v54, v49, v54
	;; [unrolled: 1-line block ×10, first 2 shown]
	v_mul_f32_e32 v26, 0xbf68dda4, v25
	v_mul_f32_e32 v49, 0x3ed4b147, v48
	v_mov_b32_e32 v28, v26
	v_mov_b32_e32 v52, v49
	v_fma_f32 v26, v31, s0, -v26
	v_fmac_f32_e32 v49, 0xbf68dda4, v15
	v_fmac_f32_e32 v28, 0x3ed4b147, v31
	v_add_f32_e32 v26, v26, v30
	v_add_f32_e32 v30, v49, v54
	v_mul_f32_e32 v49, 0xbf4178ce, v25
	v_add_f32_e32 v28, v28, v53
	v_mov_b32_e32 v53, v49
	v_fma_f32 v49, v31, s3, -v49
	v_fmac_f32_e32 v52, 0x3f68dda4, v15
	v_fmac_f32_e32 v53, 0xbf27a4f4, v31
	v_mul_f32_e32 v54, 0xbf27a4f4, v48
	v_add_f32_e32 v49, v49, v56
	v_mul_f32_e32 v56, 0x3e903f40, v25
	v_add_f32_e32 v52, v52, v55
	v_add_f32_e32 v53, v53, v57
	v_mov_b32_e32 v55, v54
	v_fmac_f32_e32 v54, 0xbf4178ce, v15
	v_mov_b32_e32 v57, v56
	v_fma_f32 v56, v31, s12, -v56
	v_fmac_f32_e32 v55, 0x3f4178ce, v15
	v_add_f32_e32 v54, v54, v58
	v_fmac_f32_e32 v57, 0xbf75a155, v31
	v_mul_f32_e32 v58, 0xbf75a155, v48
	v_add_f32_e32 v56, v56, v60
	v_mul_f32_e32 v60, 0x3f7d64f0, v25
	v_add_f32_e32 v55, v55, v59
	v_add_f32_e32 v57, v57, v61
	v_mov_b32_e32 v59, v58
	v_fmac_f32_e32 v58, 0x3e903f40, v15
	v_mov_b32_e32 v61, v60
	v_fmac_f32_e32 v59, 0xbe903f40, v15
	v_add_f32_e32 v58, v58, v62
	v_fmac_f32_e32 v61, 0xbe11bafb, v31
	v_mul_f32_e32 v62, 0xbe11bafb, v48
	v_mul_f32_e32 v48, 0x3f575c64, v48
	v_add_f32_e32 v59, v59, v63
	v_add_f32_e32 v61, v61, v65
	v_mov_b32_e32 v63, v62
	v_fma_f32 v60, v31, s1, -v60
	v_mul_f32_e32 v25, 0x3f0a6770, v25
	v_mov_b32_e32 v65, v48
	v_fmac_f32_e32 v48, 0x3f0a6770, v15
	v_fmac_f32_e32 v63, 0xbf7d64f0, v15
	v_add_f32_e32 v60, v60, v64
	v_fmac_f32_e32 v62, 0x3f7d64f0, v15
	v_mov_b32_e32 v64, v25
	v_fmac_f32_e32 v65, 0xbf0a6770, v15
	v_fma_f32 v25, v31, s2, -v25
	v_add_f32_e32 v15, v48, v29
	v_add_f32_e32 v29, v50, v14
	v_sub_f32_e32 v14, v50, v14
	v_add_f32_e32 v24, v25, v24
	v_add_f32_e32 v25, v27, v13
	v_sub_f32_e32 v13, v27, v13
	v_mul_f32_e32 v27, 0xbf7d64f0, v14
	v_fmac_f32_e32 v64, 0x3f575c64, v31
	v_mov_b32_e32 v31, v27
	v_fmac_f32_e32 v31, 0xbe11bafb, v25
	v_add_f32_e32 v28, v31, v28
	v_mul_f32_e32 v31, 0xbe11bafb, v29
	v_mov_b32_e32 v48, v31
	v_fma_f32 v27, v25, s1, -v27
	v_fmac_f32_e32 v31, 0xbf7d64f0, v13
	v_fmac_f32_e32 v48, 0x3f7d64f0, v13
	v_add_f32_e32 v26, v27, v26
	v_add_f32_e32 v27, v31, v30
	v_mul_f32_e32 v30, 0x3e903f40, v14
	v_mul_f32_e32 v50, 0xbf75a155, v29
	v_add_f32_e32 v48, v48, v52
	v_mov_b32_e32 v31, v30
	v_mov_b32_e32 v52, v50
	v_fma_f32 v30, v25, s12, -v30
	v_fmac_f32_e32 v50, 0x3e903f40, v13
	v_fmac_f32_e32 v31, 0xbf75a155, v25
	v_add_f32_e32 v30, v30, v49
	v_add_f32_e32 v49, v50, v54
	v_mul_f32_e32 v50, 0x3f68dda4, v14
	v_add_f32_e32 v31, v31, v53
	v_mov_b32_e32 v53, v50
	v_fma_f32 v50, v25, s0, -v50
	v_fmac_f32_e32 v53, 0x3ed4b147, v25
	v_add_f32_e32 v50, v50, v56
	v_mul_f32_e32 v56, 0xbf0a6770, v14
	v_fmac_f32_e32 v52, 0xbe903f40, v13
	v_add_f32_e32 v53, v53, v57
	v_mul_f32_e32 v54, 0x3ed4b147, v29
	v_mov_b32_e32 v57, v56
	v_fma_f32 v56, v25, s2, -v56
	v_mul_f32_e32 v14, 0xbf4178ce, v14
	v_add_f32_e32 v52, v52, v55
	v_mov_b32_e32 v55, v54
	v_fmac_f32_e32 v54, 0x3f68dda4, v13
	v_add_f32_e32 v56, v56, v60
	v_mov_b32_e32 v60, v14
	v_fma_f32 v14, v25, s3, -v14
	v_fmac_f32_e32 v55, 0xbf68dda4, v13
	v_add_f32_e32 v54, v54, v58
	v_fmac_f32_e32 v57, 0x3f575c64, v25
	v_mul_f32_e32 v58, 0x3f575c64, v29
	v_mul_f32_e32 v29, 0xbf27a4f4, v29
	v_add_f32_e32 v14, v14, v24
	v_add_f32_e32 v24, v22, v12
	v_sub_f32_e32 v12, v22, v12
	v_add_f32_e32 v55, v55, v59
	v_add_f32_e32 v57, v57, v61
	v_mov_b32_e32 v59, v58
	v_mov_b32_e32 v61, v29
	v_fmac_f32_e32 v29, 0xbf4178ce, v13
	v_mul_f32_e32 v22, 0xbf4178ce, v12
	v_fmac_f32_e32 v59, 0x3f0a6770, v13
	v_fmac_f32_e32 v58, 0xbf0a6770, v13
	;; [unrolled: 1-line block ×4, first 2 shown]
	v_add_f32_e32 v13, v29, v15
	v_add_f32_e32 v15, v51, v19
	v_mov_b32_e32 v25, v22
	v_fmac_f32_e32 v25, 0xbf27a4f4, v15
	v_sub_f32_e32 v19, v51, v19
	v_add_f32_e32 v25, v25, v28
	v_mul_f32_e32 v28, 0xbf27a4f4, v24
	v_fma_f32 v22, v15, s3, -v22
	v_mov_b32_e32 v29, v28
	v_add_f32_e32 v26, v22, v26
	v_fmac_f32_e32 v28, 0xbf4178ce, v19
	v_mul_f32_e32 v22, 0x3f7d64f0, v12
	v_add_f32_e32 v27, v28, v27
	v_mov_b32_e32 v28, v22
	v_fmac_f32_e32 v28, 0xbe11bafb, v15
	v_fmac_f32_e32 v29, 0x3f4178ce, v19
	v_add_f32_e32 v28, v28, v31
	v_mul_f32_e32 v31, 0xbe11bafb, v24
	v_fma_f32 v22, v15, s1, -v22
	v_add_f32_e32 v29, v29, v48
	v_mov_b32_e32 v48, v31
	v_add_f32_e32 v30, v22, v30
	v_fmac_f32_e32 v31, 0x3f7d64f0, v19
	v_mul_f32_e32 v22, 0xbf0a6770, v12
	v_add_f32_e32 v31, v31, v49
	v_mov_b32_e32 v49, v22
	v_fma_f32 v22, v15, s2, -v22
	v_fmac_f32_e32 v49, 0x3f575c64, v15
	v_add_f32_e32 v50, v22, v50
	v_mul_f32_e32 v22, 0xbe903f40, v12
	v_fmac_f32_e32 v48, 0xbf7d64f0, v19
	v_add_f32_e32 v49, v49, v53
	v_mul_f32_e32 v51, 0x3f575c64, v24
	v_mov_b32_e32 v53, v22
	v_fma_f32 v22, v15, s12, -v22
	v_mul_f32_e32 v12, 0x3f68dda4, v12
	v_add_f32_e32 v64, v64, v91
	v_add_f32_e32 v48, v48, v52
	v_mov_b32_e32 v52, v51
	v_fmac_f32_e32 v51, 0xbf0a6770, v19
	v_add_f32_e32 v56, v22, v56
	v_mov_b32_e32 v22, v12
	v_add_f32_e32 v60, v60, v64
	v_fmac_f32_e32 v52, 0x3f0a6770, v19
	v_add_f32_e32 v51, v51, v54
	v_fmac_f32_e32 v53, 0xbf75a155, v15
	v_mul_f32_e32 v54, 0xbf75a155, v24
	v_fmac_f32_e32 v22, 0x3ed4b147, v15
	v_add_f32_e32 v63, v63, v67
	v_add_f32_e32 v52, v52, v55
	;; [unrolled: 1-line block ×3, first 2 shown]
	v_mov_b32_e32 v55, v54
	v_add_f32_e32 v57, v22, v60
	v_mul_f32_e32 v22, 0x3ed4b147, v24
	v_add_f32_e32 v62, v62, v66
	v_add_f32_e32 v65, v65, v92
	;; [unrolled: 1-line block ×3, first 2 shown]
	v_fmac_f32_e32 v55, 0x3e903f40, v19
	v_mov_b32_e32 v24, v22
	v_fma_f32 v12, v15, s0, -v12
	v_sub_f32_e32 v64, v16, v18
	v_add_f32_e32 v58, v58, v62
	v_add_f32_e32 v61, v61, v65
	v_add_f32_e32 v55, v55, v59
	v_fmac_f32_e32 v54, 0xbe903f40, v19
	v_fmac_f32_e32 v24, 0xbf68dda4, v19
	v_add_f32_e32 v59, v12, v14
	v_fmac_f32_e32 v22, 0x3f68dda4, v19
	v_mul_f32_e32 v12, 0xbe903f40, v64
	v_add_f32_e32 v54, v54, v58
	v_add_f32_e32 v58, v24, v61
	;; [unrolled: 1-line block ×4, first 2 shown]
	v_mov_b32_e32 v13, v12
	v_add_f32_e32 v62, v16, v18
	v_fmac_f32_e32 v13, 0xbf75a155, v61
	v_sub_f32_e32 v63, v23, v17
	v_add_f32_e32 v22, v13, v25
	v_mul_f32_e32 v13, 0xbf75a155, v62
	v_fma_f32 v12, v61, s12, -v12
	v_mov_b32_e32 v14, v13
	v_add_f32_e32 v18, v12, v26
	v_fmac_f32_e32 v13, 0xbe903f40, v63
	v_mul_f32_e32 v12, 0x3f0a6770, v64
	v_add_f32_e32 v19, v13, v27
	v_mov_b32_e32 v13, v12
	v_fmac_f32_e32 v13, 0x3f575c64, v61
	v_fmac_f32_e32 v14, 0x3e903f40, v63
	v_add_f32_e32 v24, v13, v28
	v_mul_f32_e32 v13, 0x3f575c64, v62
	v_fma_f32 v12, v61, s2, -v12
	v_add_f32_e32 v23, v14, v29
	v_mov_b32_e32 v14, v13
	v_add_f32_e32 v16, v12, v30
	v_fmac_f32_e32 v13, 0x3f0a6770, v63
	v_mul_f32_e32 v12, 0xbf4178ce, v64
	v_add_f32_e32 v17, v13, v31
	v_mov_b32_e32 v13, v12
	v_fmac_f32_e32 v13, 0xbf27a4f4, v61
	v_fmac_f32_e32 v14, 0xbf0a6770, v63
	v_add_f32_e32 v26, v13, v49
	v_mul_f32_e32 v13, 0xbf27a4f4, v62
	v_add_f32_e32 v25, v14, v48
	v_mov_b32_e32 v14, v13
	v_fmac_f32_e32 v14, 0x3f4178ce, v63
	v_fma_f32 v12, v61, s3, -v12
	v_add_f32_e32 v27, v14, v52
	v_add_f32_e32 v14, v12, v50
	v_fmac_f32_e32 v13, 0xbf4178ce, v63
	v_mul_f32_e32 v12, 0x3f68dda4, v64
	v_add_f32_e32 v15, v13, v51
	v_mov_b32_e32 v13, v12
	v_fmac_f32_e32 v13, 0x3ed4b147, v61
	v_add_f32_e32 v28, v13, v53
	v_mul_f32_e32 v13, 0x3ed4b147, v62
	v_mul_f32_e32 v48, 0xbf7d64f0, v64
	;; [unrolled: 1-line block ×3, first 2 shown]
	v_mov_b32_e32 v29, v13
	v_mov_b32_e32 v30, v48
	;; [unrolled: 1-line block ×3, first 2 shown]
	v_fmac_f32_e32 v29, 0xbf68dda4, v63
	v_fmac_f32_e32 v30, 0xbe11bafb, v61
	;; [unrolled: 1-line block ×3, first 2 shown]
	v_fma_f32 v48, v61, s1, -v48
	v_fmac_f32_e32 v49, 0xbf7d64f0, v63
	v_add_f32_e32 v29, v29, v55
	v_fma_f32 v12, v61, s0, -v12
	v_fmac_f32_e32 v13, 0x3f68dda4, v63
	v_add_f32_e32 v30, v30, v57
	v_add_f32_e32 v31, v31, v58
	;; [unrolled: 1-line block ×4, first 2 shown]
	v_add_u32_e32 v51, 0xf00, v107
	v_add_u32_e32 v50, 0x1e00, v107
	v_add_f32_e32 v12, v12, v56
	v_add_f32_e32 v13, v13, v54
	s_barrier
	ds_write2_b64 v118, v[20:21], v[22:23] offset1:22
	ds_write2_b64 v118, v[24:25], v[26:27] offset0:44 offset1:66
	ds_write2_b64 v118, v[28:29], v[30:31] offset0:88 offset1:110
	;; [unrolled: 1-line block ×4, first 2 shown]
	ds_write_b64 v118, v[18:19] offset:1760
	s_waitcnt lgkmcnt(0)
	s_barrier
	ds_read2_b64 v[20:23], v107 offset1:242
	ds_read2_b64 v[28:31], v51 offset0:4 offset1:246
	ds_read2_b64 v[24:27], v50 offset0:8 offset1:250
	ds_read_b64 v[48:49], v107 offset:11616
	s_and_saveexec_b64 s[0:1], s[4:5]
	s_cbranch_execz .LBB0_15
; %bb.14:
	v_add_u32_e32 v12, 0x480, v107
	v_add_u32_e32 v16, 0x13c0, v107
	;; [unrolled: 1-line block ×3, first 2 shown]
	ds_read2_b64 v[12:15], v12 offset0:10 offset1:252
	ds_read2_b64 v[16:19], v16 offset0:6 offset1:248
	;; [unrolled: 1-line block ×3, first 2 shown]
	ds_read_b64 v[103:104], v107 offset:12848
.LBB0_15:
	s_or_b64 exec, exec, s[0:1]
	s_waitcnt lgkmcnt(3)
	v_mul_f32_e32 v52, v37, v23
	v_fmac_f32_e32 v52, v36, v22
	v_mul_f32_e32 v22, v37, v22
	v_fma_f32 v22, v36, v23, -v22
	s_waitcnt lgkmcnt(2)
	v_mul_f32_e32 v23, v39, v29
	v_fmac_f32_e32 v23, v38, v28
	v_mul_f32_e32 v28, v39, v28
	v_fma_f32 v28, v38, v29, -v28
	v_mul_f32_e32 v29, v33, v31
	v_fmac_f32_e32 v29, v32, v30
	v_mul_f32_e32 v30, v33, v30
	v_fma_f32 v30, v32, v31, -v30
	s_waitcnt lgkmcnt(1)
	v_mul_f32_e32 v31, v35, v25
	v_fmac_f32_e32 v31, v34, v24
	v_mul_f32_e32 v24, v35, v24
	v_fma_f32 v24, v34, v25, -v24
	v_mul_f32_e32 v25, v41, v27
	v_fmac_f32_e32 v25, v40, v26
	v_mul_f32_e32 v26, v41, v26
	v_fma_f32 v26, v40, v27, -v26
	s_waitcnt lgkmcnt(0)
	v_mul_f32_e32 v27, v43, v49
	v_mul_f32_e32 v32, v43, v48
	v_fmac_f32_e32 v27, v42, v48
	v_fma_f32 v32, v42, v49, -v32
	v_add_f32_e32 v33, v52, v27
	v_add_f32_e32 v34, v22, v32
	v_sub_f32_e32 v22, v22, v32
	v_add_f32_e32 v32, v23, v25
	v_add_f32_e32 v35, v28, v26
	v_sub_f32_e32 v23, v23, v25
	v_sub_f32_e32 v25, v28, v26
	v_add_f32_e32 v26, v29, v31
	v_add_f32_e32 v28, v30, v24
	v_sub_f32_e32 v24, v24, v30
	v_add_f32_e32 v30, v32, v33
	v_sub_f32_e32 v29, v31, v29
	;; [unrolled: 2-line block ×3, first 2 shown]
	v_sub_f32_e32 v33, v33, v26
	v_sub_f32_e32 v32, v26, v32
	v_add_f32_e32 v26, v26, v30
	v_sub_f32_e32 v37, v35, v34
	v_sub_f32_e32 v34, v34, v28
	;; [unrolled: 1-line block ×3, first 2 shown]
	v_add_f32_e32 v28, v28, v31
	v_add_f32_e32 v20, v20, v26
	v_sub_f32_e32 v27, v52, v27
	v_add_f32_e32 v38, v29, v23
	v_add_f32_e32 v39, v24, v25
	v_sub_f32_e32 v40, v29, v23
	v_sub_f32_e32 v41, v24, v25
	v_add_f32_e32 v21, v21, v28
	v_mov_b32_e32 v42, v20
	v_sub_f32_e32 v29, v27, v29
	v_sub_f32_e32 v24, v22, v24
	v_sub_f32_e32 v23, v23, v27
	v_sub_f32_e32 v25, v25, v22
	v_add_f32_e32 v27, v38, v27
	v_add_f32_e32 v22, v39, v22
	v_mul_f32_e32 v30, 0x3f4a47b2, v33
	v_mul_f32_e32 v31, 0x3f4a47b2, v34
	;; [unrolled: 1-line block ×6, first 2 shown]
	s_mov_b32 s2, 0xbf5ff5aa
	v_fmac_f32_e32 v42, 0xbf955555, v26
	v_mov_b32_e32 v26, v21
	s_mov_b32 s3, 0x3f3bfb3b
	s_mov_b32 s12, 0xbf3bfb3b
	v_mul_f32_e32 v40, 0xbf5ff5aa, v23
	v_mul_f32_e32 v41, 0xbf5ff5aa, v25
	v_fmac_f32_e32 v26, 0xbf955555, v28
	v_fma_f32 v28, v36, s3, -v33
	v_fma_f32 v33, v37, s3, -v34
	;; [unrolled: 1-line block ×3, first 2 shown]
	v_fmac_f32_e32 v30, 0x3d64c772, v32
	v_fma_f32 v32, v37, s12, -v31
	v_fmac_f32_e32 v31, 0x3d64c772, v35
	v_fma_f32 v35, v23, s2, -v38
	v_fmac_f32_e32 v38, 0xbeae86e6, v29
	v_fma_f32 v36, v25, s2, -v39
	v_fmac_f32_e32 v39, 0xbeae86e6, v24
	s_mov_b32 s13, 0x3eae86e6
	v_fma_f32 v37, v29, s13, -v40
	v_fma_f32 v40, v24, s13, -v41
	v_add_f32_e32 v41, v30, v42
	v_add_f32_e32 v43, v31, v26
	v_fmac_f32_e32 v38, 0xbee1c552, v27
	v_fmac_f32_e32 v39, 0xbee1c552, v22
	v_add_f32_e32 v28, v28, v42
	v_add_f32_e32 v29, v33, v26
	;; [unrolled: 1-line block ×4, first 2 shown]
	v_fmac_f32_e32 v35, 0xbee1c552, v27
	v_fmac_f32_e32 v36, 0xbee1c552, v22
	;; [unrolled: 1-line block ×4, first 2 shown]
	v_add_f32_e32 v22, v39, v41
	v_sub_f32_e32 v23, v43, v38
	v_add_f32_e32 v24, v40, v30
	v_sub_f32_e32 v25, v31, v37
	v_sub_f32_e32 v26, v28, v36
	v_add_f32_e32 v27, v35, v29
	v_add_f32_e32 v28, v36, v28
	v_sub_f32_e32 v29, v29, v35
	v_sub_f32_e32 v30, v30, v40
	v_add_f32_e32 v31, v37, v31
	v_sub_f32_e32 v32, v41, v39
	v_add_f32_e32 v33, v38, v43
	ds_write2_b64 v107, v[20:21], v[22:23] offset1:242
	ds_write2_b64 v51, v[24:25], v[26:27] offset0:4 offset1:246
	ds_write2_b64 v50, v[28:29], v[30:31] offset0:8 offset1:250
	ds_write_b64 v107, v[32:33] offset:11616
	s_and_saveexec_b64 s[0:1], s[4:5]
	s_cbranch_execz .LBB0_17
; %bb.16:
	v_mul_f32_e32 v20, v1, v15
	v_mul_f32_e32 v21, v7, v104
	;; [unrolled: 1-line block ×4, first 2 shown]
	v_fmac_f32_e32 v20, v0, v14
	v_fmac_f32_e32 v21, v6, v103
	v_mul_f32_e32 v24, v9, v19
	v_fma_f32 v6, v6, v104, -v7
	v_fma_f32 v7, v0, v15, -v1
	v_mul_f32_e32 v0, v9, v18
	v_fmac_f32_e32 v24, v8, v18
	v_fma_f32 v8, v8, v19, -v0
	v_mul_f32_e32 v0, v11, v44
	v_fma_f32 v9, v10, v45, -v0
	v_add_f32_e32 v14, v6, v7
	v_add_f32_e32 v0, v9, v8
	v_mul_f32_e32 v23, v11, v45
	v_sub_f32_e32 v1, v14, v0
	v_fmac_f32_e32 v23, v10, v44
	v_mul_f32_e32 v28, v5, v47
	v_mul_f32_e32 v10, 0x3f4a47b2, v1
	;; [unrolled: 1-line block ×4, first 2 shown]
	v_fmac_f32_e32 v28, v4, v46
	v_fma_f32 v4, v4, v47, -v1
	v_mul_f32_e32 v1, v3, v16
	v_fmac_f32_e32 v27, v2, v16
	v_fma_f32 v2, v2, v17, -v1
	v_add_f32_e32 v5, v4, v2
	v_sub_f32_e32 v1, v0, v5
	v_mov_b32_e32 v3, v10
	v_mul_f32_e32 v11, 0x3d64c772, v1
	v_fmac_f32_e32 v3, 0x3d64c772, v1
	v_add_f32_e32 v1, v5, v14
	v_add_f32_e32 v0, v0, v1
	;; [unrolled: 1-line block ×3, first 2 shown]
	v_mov_b32_e32 v13, v1
	v_fmac_f32_e32 v13, 0xbf955555, v0
	v_add_f32_e32 v16, v21, v20
	v_add_f32_e32 v0, v23, v24
	v_sub_f32_e32 v17, v16, v0
	v_mul_f32_e32 v17, 0x3f4a47b2, v17
	v_add_f32_e32 v18, v28, v27
	v_sub_f32_e32 v22, v20, v21
	v_sub_f32_e32 v19, v0, v18
	v_mov_b32_e32 v21, v17
	v_mul_f32_e32 v20, 0x3d64c772, v19
	v_fmac_f32_e32 v21, 0x3d64c772, v19
	v_add_f32_e32 v19, v18, v16
	v_add_f32_e32 v19, v0, v19
	v_sub_f32_e32 v6, v7, v6
	v_sub_f32_e32 v7, v9, v8
	;; [unrolled: 1-line block ×3, first 2 shown]
	v_add_f32_e32 v0, v12, v19
	v_sub_f32_e32 v2, v7, v4
	v_sub_f32_e32 v25, v23, v24
	;; [unrolled: 1-line block ×3, first 2 shown]
	v_mov_b32_e32 v12, v0
	v_mul_f32_e32 v9, 0x3f08b237, v2
	v_add_f32_e32 v2, v7, v4
	v_sub_f32_e32 v30, v25, v29
	v_fmac_f32_e32 v12, 0xbf955555, v19
	v_sub_f32_e32 v8, v6, v7
	v_add_f32_e32 v23, v2, v6
	v_sub_f32_e32 v6, v4, v6
	v_mul_f32_e32 v30, 0x3f08b237, v30
	v_add_f32_e32 v19, v21, v12
	v_mov_b32_e32 v21, v9
	v_sub_f32_e32 v14, v5, v14
	v_mul_f32_e32 v4, 0xbf5ff5aa, v6
	v_sub_f32_e32 v26, v22, v25
	v_mov_b32_e32 v31, v30
	v_add_f32_e32 v25, v25, v29
	v_fmac_f32_e32 v21, 0xbeae86e6, v8
	v_sub_f32_e32 v7, v29, v22
	v_fma_f32 v5, v14, s12, -v10
	v_sub_f32_e32 v16, v18, v16
	v_fma_f32 v18, v8, s13, -v4
	v_fma_f32 v8, v14, s3, -v11
	v_fmac_f32_e32 v31, 0xbeae86e6, v26
	v_add_f32_e32 v25, v25, v22
	v_add_f32_e32 v15, v3, v13
	v_mul_f32_e32 v22, 0xbf5ff5aa, v7
	v_add_f32_e32 v10, v5, v13
	v_fma_f32 v17, v16, s12, -v17
	v_add_f32_e32 v8, v8, v13
	v_fma_f32 v11, v7, s2, -v30
	v_fma_f32 v13, v6, s2, -v9
	;; [unrolled: 1-line block ×3, first 2 shown]
	v_fmac_f32_e32 v31, 0xbee1c552, v25
	v_fmac_f32_e32 v21, 0xbee1c552, v23
	v_fma_f32 v22, v26, s13, -v22
	v_add_f32_e32 v17, v17, v12
	v_fmac_f32_e32 v11, 0xbee1c552, v25
	v_fmac_f32_e32 v13, 0xbee1c552, v23
	v_add_f32_e32 v12, v6, v12
	v_fmac_f32_e32 v22, 0xbee1c552, v25
	v_fmac_f32_e32 v18, 0xbee1c552, v23
	v_sub_f32_e32 v7, v8, v11
	v_add_f32_e32 v6, v13, v12
	v_add_f32_e32 v9, v11, v8
	v_sub_f32_e32 v8, v12, v13
	v_sub_f32_e32 v13, v15, v31
	v_add_f32_e32 v12, v21, v19
	v_add_u32_e32 v14, 0x480, v107
	v_add_f32_e32 v5, v22, v10
	v_sub_f32_e32 v11, v10, v22
	v_add_f32_e32 v10, v18, v17
	ds_write2_b64 v14, v[0:1], v[12:13] offset0:10 offset1:252
	v_add_u32_e32 v0, 0x13c0, v107
	v_sub_f32_e32 v4, v17, v18
	ds_write2_b64 v0, v[10:11], v[8:9] offset0:6 offset1:248
	v_add_u32_e32 v0, 0x2300, v107
	v_add_f32_e32 v3, v31, v15
	v_sub_f32_e32 v2, v19, v21
	ds_write2_b64 v0, v[6:7], v[4:5] offset0:2 offset1:244
	ds_write_b64 v107, v[2:3] offset:12848
.LBB0_17:
	s_or_b64 exec, exec, s[0:1]
	s_waitcnt lgkmcnt(0)
	s_barrier
	ds_read2_b64 v[0:3], v107 offset1:154
	v_mad_u64_u32 v[4:5], s[0:1], s10, v78, 0
	s_mov_b32 s0, 0xe9078e5b
	s_mov_b32 s1, 0x3f4357f3
	s_waitcnt lgkmcnt(0)
	v_mul_f32_e32 v6, v90, v1
	v_fmac_f32_e32 v6, v89, v0
	v_cvt_f64_f32_e32 v[6:7], v6
	v_mul_f32_e32 v0, v90, v0
	v_fma_f32 v0, v89, v1, -v0
	v_cvt_f64_f32_e32 v[0:1], v0
	v_mul_f64 v[6:7], v[6:7], s[0:1]
	v_mad_u64_u32 v[8:9], s[2:3], s8, v108, 0
	v_mul_f64 v[0:1], v[0:1], s[0:1]
	v_mad_u64_u32 v[10:11], s[2:3], s11, v78, v[5:6]
	v_mov_b32_e32 v5, v9
	v_mad_u64_u32 v[11:12], s[2:3], s9, v108, v[5:6]
	v_mov_b32_e32 v5, v10
	v_cvt_f32_f64_e32 v6, v[6:7]
	v_cvt_f32_f64_e32 v7, v[0:1]
	v_lshlrev_b64 v[0:1], 3, v[4:5]
	v_mul_f32_e32 v4, v88, v3
	v_fmac_f32_e32 v4, v87, v2
	v_mul_f32_e32 v2, v88, v2
	v_fma_f32 v2, v87, v3, -v2
	v_mov_b32_e32 v9, v11
	v_mov_b32_e32 v10, s7
	v_cvt_f64_f32_e32 v[2:3], v2
	v_add_co_u32_e32 v11, vcc, s6, v0
	v_addc_co_u32_e32 v12, vcc, v10, v1, vcc
	v_lshlrev_b64 v[0:1], 3, v[8:9]
	v_mul_f64 v[8:9], v[2:3], s[0:1]
	v_add_co_u32_e32 v10, vcc, v11, v0
	v_add_u32_e32 v0, 0x800, v107
	v_addc_co_u32_e32 v11, vcc, v12, v1, vcc
	ds_read2_b64 v[0:3], v0 offset0:52 offset1:206
	v_cvt_f64_f32_e32 v[4:5], v4
	global_store_dwordx2 v[10:11], v[6:7], off
	s_mul_i32 s2, s9, 0x4d0
	s_mul_hi_u32 s3, s8, 0x4d0
	s_waitcnt lgkmcnt(0)
	v_mul_f32_e32 v6, v84, v1
	v_fmac_f32_e32 v6, v83, v0
	v_mul_f32_e32 v0, v84, v0
	v_fma_f32 v0, v83, v1, -v0
	v_mul_f64 v[4:5], v[4:5], s[0:1]
	v_cvt_f64_f32_e32 v[0:1], v0
	v_cvt_f64_f32_e32 v[6:7], v6
	s_add_i32 s2, s3, s2
	s_mul_i32 s3, s8, 0x4d0
	v_mul_f64 v[0:1], v[0:1], s[0:1]
	v_mul_f64 v[6:7], v[6:7], s[0:1]
	v_mov_b32_e32 v12, s2
	v_cvt_f32_f64_e32 v4, v[4:5]
	v_cvt_f32_f64_e32 v5, v[8:9]
	v_mov_b32_e32 v9, s2
	v_add_co_u32_e32 v8, vcc, s3, v10
	v_addc_co_u32_e32 v9, vcc, v11, v9, vcc
	global_store_dwordx2 v[8:9], v[4:5], off
	v_cvt_f32_f64_e32 v5, v[0:1]
	v_mul_f32_e32 v0, v80, v3
	v_fmac_f32_e32 v0, v79, v2
	v_cvt_f32_f64_e32 v4, v[6:7]
	v_cvt_f64_f32_e32 v[6:7], v0
	v_mul_f32_e32 v0, v80, v2
	v_fma_f32 v0, v79, v3, -v0
	v_cvt_f64_f32_e32 v[10:11], v0
	v_add_u32_e32 v0, 0x1200, v107
	ds_read2_b64 v[0:3], v0 offset0:40 offset1:194
	v_add_co_u32_e32 v8, vcc, s3, v8
	v_addc_co_u32_e32 v9, vcc, v9, v12, vcc
	global_store_dwordx2 v[8:9], v[4:5], off
	v_mul_f64 v[4:5], v[6:7], s[0:1]
	v_mul_f64 v[6:7], v[10:11], s[0:1]
	s_waitcnt lgkmcnt(0)
	v_mul_f32_e32 v10, v86, v1
	v_fmac_f32_e32 v10, v85, v0
	v_mul_f32_e32 v0, v86, v0
	v_fma_f32 v0, v85, v1, -v0
	v_cvt_f64_f32_e32 v[0:1], v0
	v_cvt_f64_f32_e32 v[10:11], v10
	v_cvt_f32_f64_e32 v4, v[4:5]
	v_cvt_f32_f64_e32 v5, v[6:7]
	v_mul_f64 v[0:1], v[0:1], s[0:1]
	v_mul_f64 v[6:7], v[10:11], s[0:1]
	v_mov_b32_e32 v10, s2
	v_add_co_u32_e32 v8, vcc, s3, v8
	v_addc_co_u32_e32 v9, vcc, v9, v10, vcc
	global_store_dwordx2 v[8:9], v[4:5], off
	v_cvt_f32_f64_e32 v5, v[0:1]
	v_mul_f32_e32 v0, v82, v3
	v_fmac_f32_e32 v0, v81, v2
	v_cvt_f32_f64_e32 v4, v[6:7]
	v_cvt_f64_f32_e32 v[6:7], v0
	v_mul_f32_e32 v0, v82, v2
	v_fma_f32 v0, v81, v3, -v0
	v_cvt_f64_f32_e32 v[10:11], v0
	v_add_u32_e32 v0, 0x1c00, v107
	ds_read2_b64 v[0:3], v0 offset0:28 offset1:182
	v_add_co_u32_e32 v8, vcc, s3, v8
	v_addc_co_u32_e32 v9, vcc, v9, v12, vcc
	global_store_dwordx2 v[8:9], v[4:5], off
	v_mul_f64 v[4:5], v[6:7], s[0:1]
	v_mul_f64 v[6:7], v[10:11], s[0:1]
	s_waitcnt lgkmcnt(0)
	v_mul_f32_e32 v10, v77, v1
	v_fmac_f32_e32 v10, v76, v0
	v_mul_f32_e32 v0, v77, v0
	v_fma_f32 v0, v76, v1, -v0
	v_cvt_f64_f32_e32 v[0:1], v0
	v_cvt_f64_f32_e32 v[10:11], v10
	v_cvt_f32_f64_e32 v4, v[4:5]
	v_cvt_f32_f64_e32 v5, v[6:7]
	v_mul_f64 v[0:1], v[0:1], s[0:1]
	v_mul_f64 v[6:7], v[10:11], s[0:1]
	;; [unrolled: 30-line block ×3, first 2 shown]
	v_mov_b32_e32 v10, s2
	v_add_co_u32_e32 v8, vcc, s3, v8
	v_addc_co_u32_e32 v9, vcc, v9, v10, vcc
	global_store_dwordx2 v[8:9], v[4:5], off
	v_cvt_f32_f64_e32 v5, v[0:1]
	v_mul_f32_e32 v0, v71, v3
	v_fmac_f32_e32 v0, v70, v2
	v_mul_f32_e32 v2, v71, v2
	v_fma_f32 v2, v70, v3, -v2
	v_cvt_f32_f64_e32 v4, v[6:7]
	v_cvt_f64_f32_e32 v[0:1], v0
	v_cvt_f64_f32_e32 v[2:3], v2
	ds_read_b64 v[6:7], v107 offset:12320
	v_add_co_u32_e32 v8, vcc, s3, v8
	v_addc_co_u32_e32 v9, vcc, v9, v10, vcc
	v_mul_f64 v[0:1], v[0:1], s[0:1]
	v_mul_f64 v[2:3], v[2:3], s[0:1]
	global_store_dwordx2 v[8:9], v[4:5], off
	s_waitcnt lgkmcnt(0)
	v_mul_f32_e32 v4, v69, v7
	v_fmac_f32_e32 v4, v68, v6
	v_mul_f32_e32 v6, v69, v6
	v_fma_f32 v6, v68, v7, -v6
	v_cvt_f64_f32_e32 v[4:5], v4
	v_cvt_f64_f32_e32 v[6:7], v6
	v_cvt_f32_f64_e32 v0, v[0:1]
	v_cvt_f32_f64_e32 v1, v[2:3]
	v_mul_f64 v[2:3], v[4:5], s[0:1]
	v_mul_f64 v[4:5], v[6:7], s[0:1]
	v_mov_b32_e32 v7, s2
	v_add_co_u32_e32 v6, vcc, s3, v8
	v_addc_co_u32_e32 v7, vcc, v9, v7, vcc
	global_store_dwordx2 v[6:7], v[0:1], off
	v_cvt_f32_f64_e32 v0, v[2:3]
	v_cvt_f32_f64_e32 v1, v[4:5]
	v_mov_b32_e32 v3, s2
	v_add_co_u32_e32 v2, vcc, s3, v6
	v_addc_co_u32_e32 v3, vcc, v7, v3, vcc
	global_store_dwordx2 v[2:3], v[0:1], off
.LBB0_18:
	s_endpgm
	.section	.rodata,"a",@progbits
	.p2align	6, 0x0
	.amdhsa_kernel bluestein_single_back_len1694_dim1_sp_op_CI_CI
		.amdhsa_group_segment_fixed_size 13552
		.amdhsa_private_segment_fixed_size 0
		.amdhsa_kernarg_size 104
		.amdhsa_user_sgpr_count 6
		.amdhsa_user_sgpr_private_segment_buffer 1
		.amdhsa_user_sgpr_dispatch_ptr 0
		.amdhsa_user_sgpr_queue_ptr 0
		.amdhsa_user_sgpr_kernarg_segment_ptr 1
		.amdhsa_user_sgpr_dispatch_id 0
		.amdhsa_user_sgpr_flat_scratch_init 0
		.amdhsa_user_sgpr_private_segment_size 0
		.amdhsa_uses_dynamic_stack 0
		.amdhsa_system_sgpr_private_segment_wavefront_offset 0
		.amdhsa_system_sgpr_workgroup_id_x 1
		.amdhsa_system_sgpr_workgroup_id_y 0
		.amdhsa_system_sgpr_workgroup_id_z 0
		.amdhsa_system_sgpr_workgroup_info 0
		.amdhsa_system_vgpr_workitem_id 0
		.amdhsa_next_free_vgpr 145
		.amdhsa_next_free_sgpr 20
		.amdhsa_reserve_vcc 1
		.amdhsa_reserve_flat_scratch 0
		.amdhsa_float_round_mode_32 0
		.amdhsa_float_round_mode_16_64 0
		.amdhsa_float_denorm_mode_32 3
		.amdhsa_float_denorm_mode_16_64 3
		.amdhsa_dx10_clamp 1
		.amdhsa_ieee_mode 1
		.amdhsa_fp16_overflow 0
		.amdhsa_exception_fp_ieee_invalid_op 0
		.amdhsa_exception_fp_denorm_src 0
		.amdhsa_exception_fp_ieee_div_zero 0
		.amdhsa_exception_fp_ieee_overflow 0
		.amdhsa_exception_fp_ieee_underflow 0
		.amdhsa_exception_fp_ieee_inexact 0
		.amdhsa_exception_int_div_zero 0
	.end_amdhsa_kernel
	.text
.Lfunc_end0:
	.size	bluestein_single_back_len1694_dim1_sp_op_CI_CI, .Lfunc_end0-bluestein_single_back_len1694_dim1_sp_op_CI_CI
                                        ; -- End function
	.section	.AMDGPU.csdata,"",@progbits
; Kernel info:
; codeLenInByte = 15576
; NumSgprs: 24
; NumVgprs: 145
; ScratchSize: 0
; MemoryBound: 0
; FloatMode: 240
; IeeeMode: 1
; LDSByteSize: 13552 bytes/workgroup (compile time only)
; SGPRBlocks: 2
; VGPRBlocks: 36
; NumSGPRsForWavesPerEU: 24
; NumVGPRsForWavesPerEU: 145
; Occupancy: 1
; WaveLimiterHint : 1
; COMPUTE_PGM_RSRC2:SCRATCH_EN: 0
; COMPUTE_PGM_RSRC2:USER_SGPR: 6
; COMPUTE_PGM_RSRC2:TRAP_HANDLER: 0
; COMPUTE_PGM_RSRC2:TGID_X_EN: 1
; COMPUTE_PGM_RSRC2:TGID_Y_EN: 0
; COMPUTE_PGM_RSRC2:TGID_Z_EN: 0
; COMPUTE_PGM_RSRC2:TIDIG_COMP_CNT: 0
	.type	__hip_cuid_ea79ad310a4e461,@object ; @__hip_cuid_ea79ad310a4e461
	.section	.bss,"aw",@nobits
	.globl	__hip_cuid_ea79ad310a4e461
__hip_cuid_ea79ad310a4e461:
	.byte	0                               ; 0x0
	.size	__hip_cuid_ea79ad310a4e461, 1

	.ident	"AMD clang version 19.0.0git (https://github.com/RadeonOpenCompute/llvm-project roc-6.4.0 25133 c7fe45cf4b819c5991fe208aaa96edf142730f1d)"
	.section	".note.GNU-stack","",@progbits
	.addrsig
	.addrsig_sym __hip_cuid_ea79ad310a4e461
	.amdgpu_metadata
---
amdhsa.kernels:
  - .args:
      - .actual_access:  read_only
        .address_space:  global
        .offset:         0
        .size:           8
        .value_kind:     global_buffer
      - .actual_access:  read_only
        .address_space:  global
        .offset:         8
        .size:           8
        .value_kind:     global_buffer
      - .actual_access:  read_only
        .address_space:  global
        .offset:         16
        .size:           8
        .value_kind:     global_buffer
      - .actual_access:  read_only
        .address_space:  global
        .offset:         24
        .size:           8
        .value_kind:     global_buffer
      - .actual_access:  read_only
        .address_space:  global
        .offset:         32
        .size:           8
        .value_kind:     global_buffer
      - .offset:         40
        .size:           8
        .value_kind:     by_value
      - .address_space:  global
        .offset:         48
        .size:           8
        .value_kind:     global_buffer
      - .address_space:  global
        .offset:         56
        .size:           8
        .value_kind:     global_buffer
      - .address_space:  global
        .offset:         64
        .size:           8
        .value_kind:     global_buffer
      - .address_space:  global
        .offset:         72
        .size:           8
        .value_kind:     global_buffer
      - .offset:         80
        .size:           4
        .value_kind:     by_value
      - .address_space:  global
        .offset:         88
        .size:           8
        .value_kind:     global_buffer
      - .address_space:  global
        .offset:         96
        .size:           8
        .value_kind:     global_buffer
    .group_segment_fixed_size: 13552
    .kernarg_segment_align: 8
    .kernarg_segment_size: 104
    .language:       OpenCL C
    .language_version:
      - 2
      - 0
    .max_flat_workgroup_size: 154
    .name:           bluestein_single_back_len1694_dim1_sp_op_CI_CI
    .private_segment_fixed_size: 0
    .sgpr_count:     24
    .sgpr_spill_count: 0
    .symbol:         bluestein_single_back_len1694_dim1_sp_op_CI_CI.kd
    .uniform_work_group_size: 1
    .uses_dynamic_stack: false
    .vgpr_count:     145
    .vgpr_spill_count: 0
    .wavefront_size: 64
amdhsa.target:   amdgcn-amd-amdhsa--gfx906
amdhsa.version:
  - 1
  - 2
...

	.end_amdgpu_metadata
